;; amdgpu-corpus repo=ROCm/rocFFT kind=compiled arch=gfx906 opt=O3
	.text
	.amdgcn_target "amdgcn-amd-amdhsa--gfx906"
	.amdhsa_code_object_version 6
	.protected	fft_rtc_back_len2700_factors_3_10_10_3_3_wgs_90_tpt_90_halfLds_dp_op_CI_CI_unitstride_sbrr_dirReg ; -- Begin function fft_rtc_back_len2700_factors_3_10_10_3_3_wgs_90_tpt_90_halfLds_dp_op_CI_CI_unitstride_sbrr_dirReg
	.globl	fft_rtc_back_len2700_factors_3_10_10_3_3_wgs_90_tpt_90_halfLds_dp_op_CI_CI_unitstride_sbrr_dirReg
	.p2align	8
	.type	fft_rtc_back_len2700_factors_3_10_10_3_3_wgs_90_tpt_90_halfLds_dp_op_CI_CI_unitstride_sbrr_dirReg,@function
fft_rtc_back_len2700_factors_3_10_10_3_3_wgs_90_tpt_90_halfLds_dp_op_CI_CI_unitstride_sbrr_dirReg: ; @fft_rtc_back_len2700_factors_3_10_10_3_3_wgs_90_tpt_90_halfLds_dp_op_CI_CI_unitstride_sbrr_dirReg
; %bb.0:
	s_load_dwordx4 s[8:11], s[4:5], 0x58
	s_load_dwordx4 s[12:15], s[4:5], 0x0
	;; [unrolled: 1-line block ×3, first 2 shown]
	v_mul_u32_u24_e32 v1, 0x2d9, v0
	v_add_u32_sdwa v6, s6, v1 dst_sel:DWORD dst_unused:UNUSED_PAD src0_sel:DWORD src1_sel:WORD_1
	v_mov_b32_e32 v1, 0
	s_waitcnt lgkmcnt(0)
	v_cmp_lt_u64_e64 s[0:1], s[14:15], 2
	v_mov_b32_e32 v4, 0
	v_mov_b32_e32 v7, v1
	s_and_b64 vcc, exec, s[0:1]
	v_mov_b32_e32 v5, 0
	s_cbranch_vccnz .LBB0_8
; %bb.1:
	s_load_dwordx2 s[0:1], s[4:5], 0x10
	s_add_u32 s2, s18, 8
	s_addc_u32 s3, s19, 0
	s_add_u32 s6, s16, 8
	v_mov_b32_e32 v4, 0
	s_addc_u32 s7, s17, 0
	v_mov_b32_e32 v5, 0
	s_waitcnt lgkmcnt(0)
	s_add_u32 s20, s0, 8
	v_mov_b32_e32 v161, v5
	s_addc_u32 s21, s1, 0
	s_mov_b64 s[22:23], 1
	v_mov_b32_e32 v160, v4
.LBB0_2:                                ; =>This Inner Loop Header: Depth=1
	s_load_dwordx2 s[24:25], s[20:21], 0x0
                                        ; implicit-def: $vgpr162_vgpr163
	s_waitcnt lgkmcnt(0)
	v_or_b32_e32 v2, s25, v7
	v_cmp_ne_u64_e32 vcc, 0, v[1:2]
	s_and_saveexec_b64 s[0:1], vcc
	s_xor_b64 s[26:27], exec, s[0:1]
	s_cbranch_execz .LBB0_4
; %bb.3:                                ;   in Loop: Header=BB0_2 Depth=1
	v_cvt_f32_u32_e32 v2, s24
	v_cvt_f32_u32_e32 v3, s25
	s_sub_u32 s0, 0, s24
	s_subb_u32 s1, 0, s25
	v_mac_f32_e32 v2, 0x4f800000, v3
	v_rcp_f32_e32 v2, v2
	v_mul_f32_e32 v2, 0x5f7ffffc, v2
	v_mul_f32_e32 v3, 0x2f800000, v2
	v_trunc_f32_e32 v3, v3
	v_mac_f32_e32 v2, 0xcf800000, v3
	v_cvt_u32_f32_e32 v3, v3
	v_cvt_u32_f32_e32 v2, v2
	v_mul_lo_u32 v8, s0, v3
	v_mul_hi_u32 v9, s0, v2
	v_mul_lo_u32 v11, s1, v2
	v_mul_lo_u32 v10, s0, v2
	v_add_u32_e32 v8, v9, v8
	v_add_u32_e32 v8, v8, v11
	v_mul_hi_u32 v9, v2, v10
	v_mul_lo_u32 v11, v2, v8
	v_mul_hi_u32 v13, v2, v8
	v_mul_hi_u32 v12, v3, v10
	v_mul_lo_u32 v10, v3, v10
	v_mul_hi_u32 v14, v3, v8
	v_add_co_u32_e32 v9, vcc, v9, v11
	v_addc_co_u32_e32 v11, vcc, 0, v13, vcc
	v_mul_lo_u32 v8, v3, v8
	v_add_co_u32_e32 v9, vcc, v9, v10
	v_addc_co_u32_e32 v9, vcc, v11, v12, vcc
	v_addc_co_u32_e32 v10, vcc, 0, v14, vcc
	v_add_co_u32_e32 v8, vcc, v9, v8
	v_addc_co_u32_e32 v9, vcc, 0, v10, vcc
	v_add_co_u32_e32 v2, vcc, v2, v8
	v_addc_co_u32_e32 v3, vcc, v3, v9, vcc
	v_mul_lo_u32 v8, s0, v3
	v_mul_hi_u32 v9, s0, v2
	v_mul_lo_u32 v10, s1, v2
	v_mul_lo_u32 v11, s0, v2
	v_add_u32_e32 v8, v9, v8
	v_add_u32_e32 v8, v8, v10
	v_mul_lo_u32 v12, v2, v8
	v_mul_hi_u32 v13, v2, v11
	v_mul_hi_u32 v14, v2, v8
	v_mul_hi_u32 v10, v3, v11
	v_mul_lo_u32 v11, v3, v11
	v_mul_hi_u32 v9, v3, v8
	v_add_co_u32_e32 v12, vcc, v13, v12
	v_addc_co_u32_e32 v13, vcc, 0, v14, vcc
	v_mul_lo_u32 v8, v3, v8
	v_add_co_u32_e32 v11, vcc, v12, v11
	v_addc_co_u32_e32 v10, vcc, v13, v10, vcc
	v_addc_co_u32_e32 v9, vcc, 0, v9, vcc
	v_add_co_u32_e32 v8, vcc, v10, v8
	v_addc_co_u32_e32 v9, vcc, 0, v9, vcc
	v_add_co_u32_e32 v8, vcc, v2, v8
	v_addc_co_u32_e32 v9, vcc, v3, v9, vcc
	v_mad_u64_u32 v[2:3], s[0:1], v6, v9, 0
	v_mul_hi_u32 v10, v6, v8
	v_add_co_u32_e32 v10, vcc, v10, v2
	v_addc_co_u32_e32 v11, vcc, 0, v3, vcc
	v_mad_u64_u32 v[2:3], s[0:1], v7, v8, 0
	v_mad_u64_u32 v[8:9], s[0:1], v7, v9, 0
	v_add_co_u32_e32 v2, vcc, v10, v2
	v_addc_co_u32_e32 v2, vcc, v11, v3, vcc
	v_addc_co_u32_e32 v3, vcc, 0, v9, vcc
	v_add_co_u32_e32 v8, vcc, v2, v8
	v_addc_co_u32_e32 v9, vcc, 0, v3, vcc
	v_mul_lo_u32 v10, s25, v8
	v_mul_lo_u32 v11, s24, v9
	v_mad_u64_u32 v[2:3], s[0:1], s24, v8, 0
	v_add3_u32 v3, v3, v11, v10
	v_sub_u32_e32 v10, v7, v3
	v_mov_b32_e32 v11, s25
	v_sub_co_u32_e32 v2, vcc, v6, v2
	v_subb_co_u32_e64 v10, s[0:1], v10, v11, vcc
	v_subrev_co_u32_e64 v11, s[0:1], s24, v2
	v_subbrev_co_u32_e64 v10, s[0:1], 0, v10, s[0:1]
	v_cmp_le_u32_e64 s[0:1], s25, v10
	v_cndmask_b32_e64 v12, 0, -1, s[0:1]
	v_cmp_le_u32_e64 s[0:1], s24, v11
	v_cndmask_b32_e64 v11, 0, -1, s[0:1]
	v_cmp_eq_u32_e64 s[0:1], s25, v10
	v_cndmask_b32_e64 v10, v12, v11, s[0:1]
	v_add_co_u32_e64 v11, s[0:1], 2, v8
	v_addc_co_u32_e64 v12, s[0:1], 0, v9, s[0:1]
	v_add_co_u32_e64 v13, s[0:1], 1, v8
	v_addc_co_u32_e64 v14, s[0:1], 0, v9, s[0:1]
	v_subb_co_u32_e32 v3, vcc, v7, v3, vcc
	v_cmp_ne_u32_e64 s[0:1], 0, v10
	v_cmp_le_u32_e32 vcc, s25, v3
	v_cndmask_b32_e64 v10, v14, v12, s[0:1]
	v_cndmask_b32_e64 v12, 0, -1, vcc
	v_cmp_le_u32_e32 vcc, s24, v2
	v_cndmask_b32_e64 v2, 0, -1, vcc
	v_cmp_eq_u32_e32 vcc, s25, v3
	v_cndmask_b32_e32 v2, v12, v2, vcc
	v_cmp_ne_u32_e32 vcc, 0, v2
	v_cndmask_b32_e64 v2, v13, v11, s[0:1]
	v_cndmask_b32_e32 v163, v9, v10, vcc
	v_cndmask_b32_e32 v162, v8, v2, vcc
.LBB0_4:                                ;   in Loop: Header=BB0_2 Depth=1
	s_andn2_saveexec_b64 s[0:1], s[26:27]
	s_cbranch_execz .LBB0_6
; %bb.5:                                ;   in Loop: Header=BB0_2 Depth=1
	v_cvt_f32_u32_e32 v2, s24
	s_sub_i32 s26, 0, s24
	v_mov_b32_e32 v163, v1
	v_rcp_iflag_f32_e32 v2, v2
	v_mul_f32_e32 v2, 0x4f7ffffe, v2
	v_cvt_u32_f32_e32 v2, v2
	v_mul_lo_u32 v3, s26, v2
	v_mul_hi_u32 v3, v2, v3
	v_add_u32_e32 v2, v2, v3
	v_mul_hi_u32 v2, v6, v2
	v_mul_lo_u32 v3, v2, s24
	v_add_u32_e32 v8, 1, v2
	v_sub_u32_e32 v3, v6, v3
	v_subrev_u32_e32 v9, s24, v3
	v_cmp_le_u32_e32 vcc, s24, v3
	v_cndmask_b32_e32 v3, v3, v9, vcc
	v_cndmask_b32_e32 v2, v2, v8, vcc
	v_add_u32_e32 v8, 1, v2
	v_cmp_le_u32_e32 vcc, s24, v3
	v_cndmask_b32_e32 v162, v2, v8, vcc
.LBB0_6:                                ;   in Loop: Header=BB0_2 Depth=1
	s_or_b64 exec, exec, s[0:1]
	v_mul_lo_u32 v8, v163, s24
	v_mul_lo_u32 v9, v162, s25
	v_mad_u64_u32 v[2:3], s[0:1], v162, s24, 0
	s_load_dwordx2 s[0:1], s[6:7], 0x0
	s_load_dwordx2 s[24:25], s[2:3], 0x0
	v_add3_u32 v3, v3, v9, v8
	v_sub_co_u32_e32 v2, vcc, v6, v2
	v_subb_co_u32_e32 v3, vcc, v7, v3, vcc
	s_waitcnt lgkmcnt(0)
	v_mul_lo_u32 v6, s0, v3
	v_mul_lo_u32 v7, s1, v2
	v_mad_u64_u32 v[4:5], s[0:1], s0, v2, v[4:5]
	v_mul_lo_u32 v3, s24, v3
	v_mul_lo_u32 v8, s25, v2
	v_mad_u64_u32 v[160:161], s[0:1], s24, v2, v[160:161]
	s_add_u32 s22, s22, 1
	s_addc_u32 s23, s23, 0
	s_add_u32 s2, s2, 8
	v_add3_u32 v161, v8, v161, v3
	s_addc_u32 s3, s3, 0
	v_mov_b32_e32 v2, s14
	s_add_u32 s6, s6, 8
	v_mov_b32_e32 v3, s15
	s_addc_u32 s7, s7, 0
	v_cmp_ge_u64_e32 vcc, s[22:23], v[2:3]
	s_add_u32 s20, s20, 8
	v_add3_u32 v5, v7, v5, v6
	s_addc_u32 s21, s21, 0
	s_cbranch_vccnz .LBB0_9
; %bb.7:                                ;   in Loop: Header=BB0_2 Depth=1
	v_mov_b32_e32 v6, v162
	v_mov_b32_e32 v7, v163
	s_branch .LBB0_2
.LBB0_8:
	v_mov_b32_e32 v161, v5
	v_mov_b32_e32 v163, v7
	;; [unrolled: 1-line block ×4, first 2 shown]
.LBB0_9:
	s_load_dwordx2 s[2:3], s[4:5], 0x28
	s_lshl_b64 s[4:5], s[14:15], 3
	s_add_u32 s6, s18, s4
	s_addc_u32 s7, s19, s5
                                        ; implicit-def: $vgpr164
	s_waitcnt lgkmcnt(0)
	v_cmp_gt_u64_e64 s[0:1], s[2:3], v[162:163]
	v_cmp_le_u64_e32 vcc, s[2:3], v[162:163]
	s_and_saveexec_b64 s[2:3], vcc
	s_xor_b64 s[2:3], exec, s[2:3]
; %bb.10:
	s_mov_b32 s14, 0x2d82d83
	v_mul_hi_u32 v1, v0, s14
                                        ; implicit-def: $vgpr4_vgpr5
	v_mul_u32_u24_e32 v1, 0x5a, v1
	v_sub_u32_e32 v164, v0, v1
                                        ; implicit-def: $vgpr0
; %bb.11:
	s_or_saveexec_b64 s[2:3], s[2:3]
                                        ; implicit-def: $vgpr82_vgpr83
                                        ; implicit-def: $vgpr78_vgpr79
                                        ; implicit-def: $vgpr62_vgpr63
                                        ; implicit-def: $vgpr70_vgpr71
                                        ; implicit-def: $vgpr86_vgpr87
                                        ; implicit-def: $vgpr58_vgpr59
                                        ; implicit-def: $vgpr90_vgpr91
                                        ; implicit-def: $vgpr94_vgpr95
                                        ; implicit-def: $vgpr66_vgpr67
                                        ; implicit-def: $vgpr108_vgpr109
                                        ; implicit-def: $vgpr98_vgpr99
                                        ; implicit-def: $vgpr104_vgpr105
                                        ; implicit-def: $vgpr28_vgpr29
                                        ; implicit-def: $vgpr112_vgpr113
                                        ; implicit-def: $vgpr24_vgpr25
                                        ; implicit-def: $vgpr52_vgpr53
                                        ; implicit-def: $vgpr48_vgpr49
                                        ; implicit-def: $vgpr36_vgpr37
                                        ; implicit-def: $vgpr44_vgpr45
                                        ; implicit-def: $vgpr40_vgpr41
                                        ; implicit-def: $vgpr32_vgpr33
                                        ; implicit-def: $vgpr16_vgpr17
                                        ; implicit-def: $vgpr20_vgpr21
                                        ; implicit-def: $vgpr158_vgpr159
                                        ; implicit-def: $vgpr74_vgpr75
                                        ; implicit-def: $vgpr116_vgpr117
                                        ; implicit-def: $vgpr2_vgpr3
                                        ; implicit-def: $vgpr12_vgpr13
                                        ; implicit-def: $vgpr136_vgpr137
                                        ; implicit-def: $vgpr8_vgpr9
	s_xor_b64 exec, exec, s[2:3]
	s_cbranch_execz .LBB0_13
; %bb.12:
	s_add_u32 s4, s16, s4
	s_addc_u32 s5, s17, s5
	s_load_dwordx2 s[4:5], s[4:5], 0x0
	s_mov_b32 s14, 0x2d82d83
	v_mul_hi_u32 v3, v0, s14
	s_waitcnt lgkmcnt(0)
	v_mul_lo_u32 v6, s5, v162
	v_mul_lo_u32 v7, s4, v163
	v_mad_u64_u32 v[1:2], s[4:5], s4, v162, 0
	v_mul_u32_u24_e32 v3, 0x5a, v3
	v_sub_u32_e32 v164, v0, v3
	v_add3_u32 v2, v2, v7, v6
	v_lshlrev_b64 v[0:1], 4, v[1:2]
	v_mov_b32_e32 v2, s9
	v_add_co_u32_e32 v3, vcc, s8, v0
	v_addc_co_u32_e32 v2, vcc, v2, v1, vcc
	v_lshlrev_b64 v[0:1], 4, v[4:5]
	s_movk_i32 s4, 0x3000
	v_add_co_u32_e32 v0, vcc, v3, v0
	v_addc_co_u32_e32 v1, vcc, v2, v1, vcc
	v_lshlrev_b32_e32 v2, 4, v164
	v_add_co_u32_e32 v4, vcc, v0, v2
	v_addc_co_u32_e32 v5, vcc, 0, v1, vcc
	v_add_co_u32_e32 v54, vcc, s4, v4
	v_addc_co_u32_e32 v55, vcc, 0, v5, vcc
	s_movk_i32 s4, 0x7000
	v_add_co_u32_e32 v22, vcc, s4, v4
	v_addc_co_u32_e32 v23, vcc, 0, v5, vcc
	s_movk_i32 s4, 0x4000
	;; [unrolled: 3-line block ×3, first 2 shown]
	v_add_co_u32_e32 v28, vcc, s4, v4
	v_addc_co_u32_e32 v29, vcc, 0, v5, vcc
	s_mov_b32 s4, 0x8000
	v_add_co_u32_e32 v56, vcc, s4, v4
	v_addc_co_u32_e32 v57, vcc, 0, v5, vcc
	s_movk_i32 s4, 0x5000
	v_add_co_u32_e32 v76, vcc, s4, v4
	v_addc_co_u32_e32 v77, vcc, 0, v5, vcc
	s_movk_i32 s4, 0x2000
	v_add_co_u32_e32 v78, vcc, s4, v4
	v_addc_co_u32_e32 v79, vcc, 0, v5, vcc
	s_mov_b32 s4, 0x9000
	v_add_co_u32_e32 v80, vcc, s4, v4
	v_addc_co_u32_e32 v81, vcc, 0, v5, vcc
	s_movk_i32 s4, 0x6000
	v_add_co_u32_e32 v82, vcc, s4, v4
	v_addc_co_u32_e32 v83, vcc, 0, v5, vcc
	v_add_co_u32_e32 v100, vcc, 0xa000, v4
	global_load_dwordx4 v[6:9], v[4:5], off
	global_load_dwordx4 v[0:3], v[4:5], off offset:1440
	global_load_dwordx4 v[10:13], v[22:23], off offset:128
	;; [unrolled: 1-line block ×12, first 2 shown]
	s_nop 0
	global_load_dwordx4 v[26:29], v[56:57], off offset:3232
	v_addc_co_u32_e32 v101, vcc, 0, v5, vcc
	global_load_dwordx4 v[110:113], v[76:77], off offset:1120
	global_load_dwordx4 v[96:99], v[76:77], off offset:2560
	;; [unrolled: 1-line block ×13, first 2 shown]
                                        ; kill: killed $vgpr80 killed $vgpr81
                                        ; kill: killed $vgpr4 killed $vgpr5
                                        ; kill: killed $vgpr78 killed $vgpr79
                                        ; kill: killed $vgpr54 killed $vgpr55
                                        ; kill: killed $vgpr76 killed $vgpr77
	global_load_dwordx4 v[84:87], v[82:83], off offset:1344
	global_load_dwordx4 v[76:79], v[82:83], off offset:2784
                                        ; kill: killed $vgpr82 killed $vgpr83
	s_nop 0
	global_load_dwordx4 v[80:83], v[100:101], off offset:800
.LBB0_13:
	s_or_b64 exec, exec, s[2:3]
	s_waitcnt vmcnt(7)
	v_add_f64 v[4:5], v[10:11], v[134:135]
	s_waitcnt vmcnt(6)
	v_add_f64 v[118:119], v[72:73], v[114:115]
	v_add_f64 v[54:55], v[114:115], v[0:1]
	;; [unrolled: 1-line block ×4, first 2 shown]
	v_add_f64 v[116:117], v[116:117], -v[74:75]
	v_add_f64 v[122:123], v[134:135], v[6:7]
	v_add_f64 v[124:125], v[136:137], -v[12:13]
	v_fma_f64 v[4:5], v[4:5], -0.5, v[6:7]
	v_add_f64 v[180:181], v[114:115], -v[72:73]
	v_add_f64 v[114:115], v[14:15], v[18:19]
	v_fma_f64 v[0:1], v[118:119], -0.5, v[0:1]
	s_mov_b32 s2, 0xe8584caa
	s_mov_b32 s3, 0xbfebb67a
	s_waitcnt vmcnt(5)
	v_add_f64 v[6:7], v[18:19], v[156:157]
	v_add_f64 v[122:123], v[10:11], v[122:123]
	v_fma_f64 v[126:127], v[124:125], s[2:3], v[4:5]
	v_add_f64 v[54:55], v[72:73], v[54:55]
	v_fma_f64 v[184:185], v[120:121], -0.5, v[2:3]
	v_fma_f64 v[2:3], v[114:115], -0.5, v[156:157]
	v_add_f64 v[72:73], v[20:21], -v[16:17]
	v_fma_f64 v[120:121], v[116:117], s[2:3], v[0:1]
	v_add_f64 v[128:129], v[42:43], v[38:39]
	v_mad_u32_u24 v186, v164, 24, 0
	v_add_u32_e32 v187, 0x870, v186
	v_add_f64 v[130:131], v[50:51], v[46:47]
	ds_write2_b64 v186, v[122:123], v[126:127] offset1:1
	v_add_f64 v[6:7], v[14:15], v[6:7]
	v_fma_f64 v[122:123], v[72:73], s[2:3], v[2:3]
	ds_write2_b64 v187, v[54:55], v[120:121] offset1:1
	v_add_f64 v[54:55], v[26:27], v[110:111]
	v_add_f64 v[182:183], v[74:75], v[100:101]
	;; [unrolled: 1-line block ×3, first 2 shown]
	v_fma_f64 v[30:31], v[128:129], -0.5, v[30:31]
	v_add_f64 v[100:101], v[40:41], -v[44:45]
	v_add_u32_e32 v188, 0x10e0, v186
	s_mov_b32 s5, 0x3febb67a
	s_mov_b32 s4, s2
	v_add_f64 v[114:115], v[46:47], v[34:35]
	v_fma_f64 v[34:35], v[130:131], -0.5, v[34:35]
	v_add_f64 v[118:119], v[48:49], -v[52:53]
	ds_write2_b64 v188, v[6:7], v[122:123] offset1:1
	v_fma_f64 v[6:7], v[54:55], -0.5, v[22:23]
	v_fma_f64 v[4:5], v[124:125], s[4:5], v[4:5]
	v_add_f64 v[22:23], v[110:111], v[22:23]
	v_add_f64 v[74:75], v[42:43], v[74:75]
	v_fma_f64 v[126:127], v[100:101], s[2:3], v[30:31]
	v_add_f64 v[54:55], v[112:113], -v[28:29]
	v_fma_f64 v[2:3], v[72:73], s[4:5], v[2:3]
	v_add_f64 v[72:73], v[106:107], v[96:97]
	v_add_f64 v[114:115], v[50:51], v[114:115]
	v_fma_f64 v[128:129], v[118:119], s[2:3], v[34:35]
	v_fma_f64 v[0:1], v[116:117], s[4:5], v[0:1]
	ds_write_b64 v186, v[4:5] offset:16
	v_add_f64 v[4:5], v[26:27], v[22:23]
	v_add_f64 v[22:23], v[96:97], v[102:103]
	v_add_u32_e32 v189, 0x1950, v186
	ds_write2_b64 v189, v[74:75], v[126:127] offset1:1
	v_fma_f64 v[30:31], v[100:101], s[4:5], v[30:31]
	v_fma_f64 v[74:75], v[54:55], s[2:3], v[6:7]
	;; [unrolled: 1-line block ×3, first 2 shown]
	v_fma_f64 v[54:55], v[72:73], -0.5, v[102:103]
	v_add_f64 v[72:73], v[98:99], -v[108:109]
	v_fma_f64 v[34:35], v[118:119], s[4:5], v[34:35]
	v_add_u32_e32 v190, 0x21c0, v186
	ds_write2_b64 v190, v[114:115], v[128:129] offset1:1
	ds_write_b64 v186, v[0:1] offset:2176
	ds_write_b64 v186, v[2:3] offset:4336
	;; [unrolled: 1-line block ×5, first 2 shown]
	v_add_f64 v[0:1], v[106:107], v[22:23]
	v_add_u32_e32 v191, 0x2a38, v186
	v_fma_f64 v[2:3], v[72:73], s[2:3], v[54:55]
	v_fma_f64 v[4:5], v[72:73], s[4:5], v[54:55]
	v_add_f64 v[22:23], v[88:89], v[92:93]
	ds_write2_b64 v191, v[74:75], v[6:7] offset1:1
	v_add_f64 v[6:7], v[92:93], v[64:65]
	s_waitcnt vmcnt(2)
	v_add_f64 v[30:31], v[68:69], v[84:85]
	ds_write_b64 v186, v[0:1] offset:12960
	s_waitcnt vmcnt(0)
	v_add_f64 v[0:1], v[80:81], v[76:77]
	v_add_u32_e32 v192, 0x32a8, v186
	ds_write2_b64 v192, v[2:3], v[4:5] offset1:1
	v_fma_f64 v[2:3], v[22:23], -0.5, v[64:65]
	v_add_f64 v[4:5], v[94:95], -v[90:91]
	v_add_f64 v[6:7], v[88:89], v[6:7]
	v_fma_f64 v[22:23], v[30:31], -0.5, v[56:57]
	v_add_f64 v[34:35], v[86:87], -v[70:71]
	v_add_f64 v[30:31], v[84:85], v[56:57]
	v_add_f64 v[54:55], v[76:77], v[60:61]
	v_fma_f64 v[0:1], v[0:1], -0.5, v[60:61]
	v_add_f64 v[56:57], v[78:79], -v[82:83]
	v_fma_f64 v[60:61], v[4:5], s[2:3], v[2:3]
	v_fma_f64 v[2:3], v[4:5], s[4:5], v[2:3]
	ds_write_b64 v186, v[6:7] offset:15120
	v_fma_f64 v[6:7], v[34:35], s[2:3], v[22:23]
	v_fma_f64 v[22:23], v[34:35], s[4:5], v[22:23]
	v_add_f64 v[4:5], v[68:69], v[30:31]
	v_add_f64 v[30:31], v[80:81], v[54:55]
	v_fma_f64 v[34:35], v[56:57], s[2:3], v[0:1]
	v_fma_f64 v[0:1], v[56:57], s[4:5], v[0:1]
	v_add_u32_e32 v64, 0x3b18, v186
	v_add_u32_e32 v65, 0x4388, v186
	ds_write2_b64 v64, v[60:61], v[2:3] offset1:1
	ds_write_b64 v186, v[4:5] offset:17280
	ds_write2_b64 v65, v[6:7], v[22:23] offset1:1
	ds_write_b64 v186, v[30:31] offset:19440
	v_add_f64 v[22:23], v[16:17], v[20:21]
	v_add_f64 v[30:31], v[44:45], v[40:41]
	v_add_u32_e32 v193, 0x4bf8, v186
	ds_write2_b64 v193, v[34:35], v[0:1] offset1:1
	v_add_f64 v[34:35], v[52:53], v[48:49]
	v_add_f64 v[20:21], v[20:21], v[158:159]
	v_add_f64 v[14:15], v[18:19], -v[14:15]
	v_lshl_add_u32 v165, v164, 3, 0
	v_fma_f64 v[22:23], v[22:23], -0.5, v[158:159]
	v_fma_f64 v[18:19], v[30:31], -0.5, v[32:33]
	v_add_f64 v[30:31], v[40:41], v[32:33]
	v_add_f64 v[32:33], v[38:39], -v[42:43]
	v_fma_f64 v[34:35], v[34:35], -0.5, v[36:37]
	v_add_f64 v[36:37], v[48:49], v[36:37]
	v_add_f64 v[38:39], v[46:47], -v[50:51]
	v_fma_f64 v[40:41], v[180:181], s[4:5], v[184:185]
	v_add_f64 v[16:17], v[16:17], v[20:21]
	v_fma_f64 v[20:21], v[14:15], s[4:5], v[22:23]
	v_add_f64 v[30:31], v[44:45], v[30:31]
	v_fma_f64 v[42:43], v[32:33], s[4:5], v[18:19]
	v_add_u32_e32 v171, 0x800, v165
	v_add_u32_e32 v176, 0x2800, v165
	;; [unrolled: 1-line block ×3, first 2 shown]
	s_load_dwordx2 s[6:7], s[6:7], 0x0
	s_waitcnt lgkmcnt(0)
	s_barrier
	v_add_u32_e32 v168, 0x400, v165
	v_add_u32_e32 v174, 0x1000, v165
	;; [unrolled: 1-line block ×11, first 2 shown]
	ds_read2_b64 v[4:7], v165 offset1:90
	ds_read2_b64 v[0:3], v168 offset0:52 offset1:142
	ds_read2_b64 v[154:157], v174 offset0:28 offset1:118
	;; [unrolled: 1-line block ×14, first 2 shown]
	s_waitcnt lgkmcnt(0)
	v_add_f64 v[36:37], v[52:53], v[36:37]
	v_fma_f64 v[44:45], v[38:39], s[4:5], v[34:35]
	s_barrier
	ds_write2_b64 v187, v[182:183], v[40:41] offset1:1
	v_add_f64 v[40:41], v[136:137], v[8:9]
	ds_write2_b64 v188, v[16:17], v[20:21] offset1:1
	ds_write2_b64 v189, v[30:31], v[42:43] offset1:1
	v_add_f64 v[16:17], v[12:13], v[136:137]
	v_add_f64 v[30:31], v[28:29], v[112:113]
	ds_write2_b64 v190, v[36:37], v[44:45] offset1:1
	v_add_f64 v[36:37], v[98:99], v[104:105]
	v_add_f64 v[10:11], v[134:135], -v[10:11]
	v_add_f64 v[20:21], v[112:113], v[24:25]
	v_add_f64 v[12:13], v[12:13], v[40:41]
	;; [unrolled: 1-line block ×3, first 2 shown]
	v_fma_f64 v[8:9], v[16:17], -0.5, v[8:9]
	v_fma_f64 v[24:25], v[30:31], -0.5, v[24:25]
	v_add_f64 v[46:47], v[70:71], v[86:87]
	v_add_f64 v[30:31], v[108:109], v[36:37]
	;; [unrolled: 1-line block ×3, first 2 shown]
	v_add_f64 v[16:17], v[110:111], -v[26:27]
	v_add_f64 v[20:21], v[28:29], v[20:21]
	v_fma_f64 v[36:37], v[40:41], -0.5, v[104:105]
	v_add_f64 v[40:41], v[90:91], v[94:95]
	v_fma_f64 v[52:53], v[10:11], s[4:5], v[8:9]
	v_add_f64 v[26:27], v[94:95], v[66:67]
	v_add_f64 v[28:29], v[96:97], -v[106:107]
	v_add_f64 v[42:43], v[92:93], -v[88:89]
	v_add_f64 v[44:45], v[86:87], v[58:59]
	v_add_f64 v[48:49], v[78:79], v[62:63]
	v_add_f64 v[60:61], v[84:85], -v[68:69]
	v_fma_f64 v[40:41], v[40:41], -0.5, v[66:67]
	v_fma_f64 v[46:47], v[46:47], -0.5, v[58:59]
	v_add_f64 v[58:59], v[76:77], -v[80:81]
	v_fma_f64 v[50:51], v[50:51], -0.5, v[62:63]
	v_fma_f64 v[8:9], v[10:11], s[2:3], v[8:9]
	v_fma_f64 v[10:11], v[180:181], s[2:3], v[184:185]
	ds_write2_b64 v186, v[12:13], v[52:53] offset1:1
	v_fma_f64 v[12:13], v[14:15], s[2:3], v[22:23]
	v_fma_f64 v[14:15], v[32:33], s[2:3], v[18:19]
	;; [unrolled: 1-line block ×5, first 2 shown]
	s_movk_i32 s8, 0xab
	v_add_f64 v[26:27], v[90:91], v[26:27]
	v_add_f64 v[44:45], v[70:71], v[44:45]
	;; [unrolled: 1-line block ×3, first 2 shown]
	v_fma_f64 v[24:25], v[28:29], s[4:5], v[36:37]
	v_fma_f64 v[28:29], v[28:29], s[2:3], v[36:37]
	;; [unrolled: 1-line block ×8, first 2 shown]
	ds_write_b64 v186, v[8:9] offset:16
	ds_write_b64 v186, v[10:11] offset:2176
	;; [unrolled: 1-line block ×6, first 2 shown]
	ds_write2_b64 v191, v[22:23], v[16:17] offset1:1
	ds_write_b64 v186, v[30:31] offset:12960
	ds_write2_b64 v192, v[24:25], v[28:29] offset1:1
	ds_write_b64 v186, v[26:27] offset:15120
	;; [unrolled: 2-line block ×4, first 2 shown]
	ds_write2_b64 v193, v[40:41], v[42:43] offset1:1
	v_mul_lo_u16_sdwa v8, v164, s8 dst_sel:DWORD dst_unused:UNUSED_PAD src0_sel:BYTE_0 src1_sel:DWORD
	v_lshrrev_b16_e32 v134, 9, v8
	v_mul_lo_u16_e32 v8, 3, v134
	v_sub_u16_e32 v135, v164, v8
	v_mov_b32_e32 v136, 9
	v_mul_u32_u24_sdwa v8, v135, v136 dst_sel:DWORD dst_unused:UNUSED_PAD src0_sel:BYTE_0 src1_sel:DWORD
	v_lshlrev_b32_e32 v8, 4, v8
	s_waitcnt lgkmcnt(0)
	s_barrier
	global_load_dwordx4 v[16:19], v8, s[12:13] offset:16
	v_add_u32_e32 v158, 0x5a, v164
	v_mul_lo_u16_sdwa v9, v158, s8 dst_sel:DWORD dst_unused:UNUSED_PAD src0_sel:BYTE_0 src1_sel:DWORD
	v_lshrrev_b16_e32 v180, 9, v9
	v_mul_lo_u16_e32 v9, 3, v180
	v_sub_u16_e32 v137, v158, v9
	v_mul_u32_u24_sdwa v9, v137, v136 dst_sel:DWORD dst_unused:UNUSED_PAD src0_sel:BYTE_0 src1_sel:DWORD
	v_lshlrev_b32_e32 v11, 4, v9
	global_load_dwordx4 v[20:23], v11, s[12:13] offset:16
	global_load_dwordx4 v[28:31], v8, s[12:13] offset:48
	;; [unrolled: 1-line block ×7, first 2 shown]
	global_load_dwordx4 v[58:61], v11, s[12:13]
	s_mov_b32 s8, 0xaaab
	v_add_u32_e32 v159, 0xb4, v164
	v_mul_u32_u24_sdwa v9, v159, s8 dst_sel:DWORD dst_unused:UNUSED_PAD src0_sel:WORD_0 src1_sel:DWORD
	v_lshrrev_b32_e32 v182, 17, v9
	v_mul_lo_u16_e32 v9, 3, v182
	v_sub_u16_e32 v181, v159, v9
	v_mul_u32_u24_e32 v9, 9, v181
	v_lshlrev_b32_e32 v66, 4, v9
	global_load_dwordx4 v[62:65], v66, s[12:13]
	global_load_dwordx4 v[68:71], v8, s[12:13] offset:32
	global_load_dwordx4 v[82:85], v66, s[12:13] offset:16
	;; [unrolled: 1-line block ×5, first 2 shown]
	ds_read2_b64 v[76:79], v174 offset0:28 offset1:118
	global_load_dwordx4 v[191:194], v66, s[12:13] offset:48
	global_load_dwordx4 v[12:15], v8, s[12:13]
	global_load_dwordx4 v[195:198], v11, s[12:13] offset:64
	global_load_dwordx4 v[207:210], v11, s[12:13] offset:96
	global_load_dwordx4 v[199:202], v66, s[12:13] offset:64
	ds_read2_b64 v[86:89], v169 offset0:56 offset1:146
	global_load_dwordx4 v[203:206], v8, s[12:13] offset:96
	global_load_dwordx4 v[215:218], v8, s[12:13] offset:128
	global_load_dwordx4 v[211:214], v66, s[12:13] offset:96
	global_load_dwordx4 v[219:222], v66, s[12:13] offset:128
	s_mov_b32 s20, 0x134454ff
	s_mov_b32 s21, 0xbfee6f0e
	s_mov_b32 s9, 0x3fee6f0e
	s_mov_b32 s8, s20
	s_mov_b32 s16, 0x4755a5e
	s_mov_b32 s17, 0xbfe2cf23
	s_mov_b32 s15, 0x3fe2cf23
	s_mov_b32 s14, s16
	s_mov_b32 s18, 0x372fe950
	s_mov_b32 s19, 0x3fd3c6ef
	s_mov_b32 s22, 0x9b97f4a8
	s_mov_b32 s23, 0x3fe9e377
	s_mov_b32 s25, 0xbfd3c6ef
	s_mov_b32 s24, s18
	s_mov_b32 s27, 0xbfe9e377
	s_mov_b32 s26, s22
	s_movk_i32 s28, 0x89
	s_waitcnt vmcnt(23) lgkmcnt(1)
	v_mul_f64 v[9:10], v[76:77], v[18:19]
	s_waitcnt vmcnt(22)
	v_mul_f64 v[26:27], v[78:79], v[22:23]
	v_mul_f64 v[22:23], v[156:157], v[22:23]
	v_mul_f64 v[18:19], v[154:155], v[18:19]
	v_fma_f64 v[24:25], v[154:155], v[16:17], v[9:10]
	s_waitcnt vmcnt(21) lgkmcnt(0)
	v_mul_f64 v[9:10], v[86:87], v[30:31]
	v_fma_f64 v[104:105], v[156:157], v[20:21], v[26:27]
	v_fma_f64 v[80:81], v[78:79], v[20:21], -v[22:23]
	global_load_dwordx4 v[154:157], v66, s[12:13] offset:80
	ds_read2_b64 v[20:23], v178 offset0:84 offset1:174
	v_fma_f64 v[16:17], v[76:77], v[16:17], -v[18:19]
	v_mul_f64 v[18:19], v[150:151], v[30:31]
	s_waitcnt vmcnt(21)
	v_mul_f64 v[30:31], v[88:89], v[34:35]
	v_fma_f64 v[26:27], v[150:151], v[28:29], v[9:10]
	s_waitcnt vmcnt(20) lgkmcnt(0)
	v_mul_f64 v[9:10], v[20:21], v[38:39]
	s_waitcnt vmcnt(19)
	v_mul_f64 v[52:53], v[22:23], v[42:43]
	v_mul_f64 v[34:35], v[152:153], v[34:35]
	;; [unrolled: 1-line block ×3, first 2 shown]
	ds_read2_b64 v[76:79], v173 offset0:112 offset1:202
	v_fma_f64 v[18:19], v[86:87], v[28:29], -v[18:19]
	v_fma_f64 v[106:107], v[152:153], v[32:33], v[30:31]
	v_mul_f64 v[30:31], v[144:145], v[42:43]
	v_fma_f64 v[28:29], v[142:143], v[36:37], v[9:10]
	global_load_dwordx4 v[150:153], v66, s[12:13] offset:112
	v_fma_f64 v[108:109], v[144:145], v[40:41], v[52:53]
	global_load_dwordx4 v[142:145], v11, s[12:13] offset:128
	v_fma_f64 v[90:91], v[88:89], v[32:33], -v[34:35]
	s_waitcnt vmcnt(20) lgkmcnt(0)
	v_mul_f64 v[32:33], v[76:77], v[46:47]
	ds_read2_b64 v[8:11], v171 offset0:104 offset1:194
	v_fma_f64 v[20:21], v[20:21], v[36:37], -v[38:39]
	v_fma_f64 v[88:89], v[22:23], v[40:41], -v[30:31]
	s_waitcnt vmcnt(19)
	v_mul_f64 v[38:39], v[132:133], v[50:51]
	s_waitcnt vmcnt(18)
	v_mul_f64 v[42:43], v[146:147], v[60:61]
	s_waitcnt lgkmcnt(0)
	v_mul_f64 v[40:41], v[8:9], v[60:61]
	s_waitcnt vmcnt(17)
	v_mul_f64 v[52:53], v[148:149], v[64:65]
	v_mul_f64 v[22:23], v[130:131], v[46:47]
	v_fma_f64 v[30:31], v[130:131], v[44:45], v[32:33]
	ds_read2_b64 v[32:35], v177 offset0:80 offset1:170
	v_mul_f64 v[36:37], v[78:79], v[50:51]
	v_mul_f64 v[46:47], v[10:11], v[64:65]
	v_fma_f64 v[92:93], v[78:79], v[48:49], -v[38:39]
	v_fma_f64 v[50:51], v[146:147], v[58:59], v[40:41]
	v_fma_f64 v[112:113], v[8:9], v[58:59], -v[42:43]
	v_fma_f64 v[66:67], v[10:11], v[62:63], -v[52:53]
	ds_read2_b64 v[8:11], v167 offset0:132 offset1:222
	s_waitcnt vmcnt(15) lgkmcnt(1)
	v_mul_f64 v[38:39], v[32:33], v[84:85]
	s_waitcnt vmcnt(14)
	v_mul_f64 v[58:59], v[138:139], v[96:97]
	s_waitcnt vmcnt(13)
	v_mul_f64 v[64:65], v[140:141], v[185:186]
	v_fma_f64 v[22:23], v[76:77], v[44:45], -v[22:23]
	v_mul_f64 v[44:45], v[34:35], v[70:71]
	v_fma_f64 v[110:111], v[132:133], v[48:49], v[36:37]
	v_mul_f64 v[36:37], v[116:117], v[70:71]
	v_mul_f64 v[42:43], v[114:115], v[84:85]
	s_waitcnt lgkmcnt(0)
	v_mul_f64 v[48:49], v[8:9], v[96:97]
	v_mul_f64 v[60:61], v[10:11], v[185:186]
	v_fma_f64 v[76:77], v[114:115], v[82:83], v[38:39]
	v_fma_f64 v[114:115], v[8:9], v[94:95], -v[58:59]
	v_fma_f64 v[70:71], v[10:11], v[183:184], -v[64:65]
	ds_read2_b64 v[8:11], v176 offset0:160 offset1:250
	v_fma_f64 v[40:41], v[148:149], v[62:63], v[46:47]
	v_fma_f64 v[62:63], v[116:117], v[68:69], v[44:45]
	ds_read2_b64 v[44:47], v172 offset0:108 offset1:198
	v_fma_f64 v[34:35], v[34:35], v[68:69], -v[36:37]
	v_fma_f64 v[68:69], v[32:33], v[82:83], -v[42:43]
	v_fma_f64 v[52:53], v[138:139], v[94:95], v[48:49]
	v_fma_f64 v[42:43], v[140:141], v[183:184], v[60:61]
	s_waitcnt vmcnt(11)
	v_mul_f64 v[48:49], v[100:101], v[193:194]
	s_waitcnt vmcnt(9)
	v_mul_f64 v[60:61], v[126:127], v[197:198]
	s_waitcnt vmcnt(7) lgkmcnt(1)
	v_mul_f64 v[78:79], v[10:11], v[201:202]
	v_mul_f64 v[84:85], v[128:129], v[201:202]
	s_waitcnt lgkmcnt(0)
	v_mul_f64 v[36:37], v[46:47], v[189:190]
	v_mul_f64 v[32:33], v[102:103], v[189:190]
	ds_read2_b64 v[96:99], v166 offset0:8 offset1:98
	v_mul_f64 v[38:39], v[44:45], v[193:194]
	v_mul_f64 v[58:59], v[8:9], v[197:198]
	v_fma_f64 v[82:83], v[44:45], v[191:192], -v[48:49]
	v_fma_f64 v[116:117], v[8:9], v[195:196], -v[60:61]
	v_fma_f64 v[44:45], v[128:129], v[199:200], v[78:79]
	v_fma_f64 v[78:79], v[10:11], v[199:200], -v[84:85]
	ds_read2_b64 v[8:11], v170 offset0:60 offset1:150
	v_fma_f64 v[64:65], v[102:103], v[187:188], v[36:37]
	v_fma_f64 v[36:37], v[46:47], v[187:188], -v[32:33]
	s_waitcnt vmcnt(6) lgkmcnt(1)
	v_mul_f64 v[32:33], v[98:99], v[205:206]
	v_fma_f64 v[58:59], v[126:127], v[195:196], v[58:59]
	s_waitcnt lgkmcnt(0)
	v_mul_f64 v[60:61], v[8:9], v[209:210]
	s_waitcnt vmcnt(4)
	v_mul_f64 v[84:85], v[10:11], v[213:214]
	v_mul_f64 v[102:103], v[120:121], v[213:214]
	ds_read2_b64 v[128:131], v175 offset0:36 offset1:126
	s_waitcnt vmcnt(2)
	v_mul_f64 v[46:47], v[96:97], v[156:157]
	v_mul_f64 v[48:49], v[72:73], v[156:157]
	v_fma_f64 v[126:127], v[74:75], v[203:204], v[32:33]
	v_mul_f64 v[32:33], v[74:75], v[205:206]
	v_mul_f64 v[74:75], v[118:119], v[209:210]
	v_fma_f64 v[60:61], v[118:119], v[207:208], v[60:61]
	v_fma_f64 v[86:87], v[100:101], v[191:192], v[38:39]
	v_add_f64 v[140:141], v[16:17], -v[22:23]
	v_fma_f64 v[94:95], v[72:73], v[154:155], v[46:47]
	v_fma_f64 v[46:47], v[120:121], v[211:212], v[84:85]
	ds_read2_b64 v[118:121], v179 offset0:88 offset1:178
	v_fma_f64 v[38:39], v[98:99], v[203:204], -v[32:33]
	v_fma_f64 v[72:73], v[96:97], v[154:155], -v[48:49]
	s_waitcnt lgkmcnt(1)
	v_mul_f64 v[32:33], v[130:131], v[217:218]
	v_fma_f64 v[100:101], v[8:9], v[207:208], -v[74:75]
	v_fma_f64 v[74:75], v[10:11], v[211:212], -v[102:103]
	v_mul_f64 v[48:49], v[56:57], v[217:218]
	s_waitcnt vmcnt(1)
	v_mul_f64 v[84:85], v[128:129], v[152:153]
	v_mul_f64 v[96:97], v[54:55], v[152:153]
	s_waitcnt vmcnt(0) lgkmcnt(0)
	v_mul_f64 v[102:103], v[118:119], v[144:145]
	v_mul_f64 v[132:133], v[122:123], v[144:145]
	;; [unrolled: 1-line block ×3, first 2 shown]
	ds_read2_b64 v[8:11], v168 offset0:52 offset1:142
	v_fma_f64 v[56:57], v[56:57], v[215:216], v[32:33]
	v_fma_f64 v[32:33], v[130:131], v[215:216], -v[48:49]
	v_fma_f64 v[98:99], v[54:55], v[150:151], v[84:85]
	v_fma_f64 v[84:85], v[128:129], v[150:151], -v[96:97]
	v_mul_f64 v[96:97], v[124:125], v[221:222]
	s_waitcnt lgkmcnt(0)
	v_mul_f64 v[128:129], v[10:11], v[14:15]
	v_fma_f64 v[54:55], v[122:123], v[142:143], v[102:103]
	v_fma_f64 v[102:103], v[118:119], v[142:143], -v[132:133]
	v_fma_f64 v[48:49], v[124:125], v[219:220], v[138:139]
	v_mul_f64 v[118:119], v[2:3], v[14:15]
	v_add_f64 v[122:123], v[24:25], -v[26:27]
	v_add_f64 v[124:125], v[30:31], -v[28:29]
	v_add_f64 v[130:131], v[4:5], v[24:25]
	v_fma_f64 v[96:97], v[120:121], v[219:220], -v[96:97]
	v_fma_f64 v[14:15], v[2:3], v[12:13], v[128:129]
	v_add_f64 v[120:121], v[34:35], -v[36:37]
	v_add_f64 v[128:129], v[32:33], -v[38:39]
	v_add_f64 v[132:133], v[26:27], v[28:29]
	v_fma_f64 v[2:3], v[10:11], v[12:13], -v[118:119]
	v_add_f64 v[118:119], v[122:123], v[124:125]
	v_add_f64 v[12:13], v[36:37], v[38:39]
	;; [unrolled: 1-line block ×4, first 2 shown]
	v_add_f64 v[138:139], v[62:63], -v[56:57]
	v_add_f64 v[120:121], v[120:121], v[128:129]
	v_fma_f64 v[128:129], v[132:133], -0.5, v[4:5]
	v_add_f64 v[142:143], v[34:35], -v[32:33]
	v_add_f64 v[10:11], v[62:63], -v[64:65]
	v_fma_f64 v[132:133], v[12:13], -0.5, v[2:3]
	v_add_f64 v[122:123], v[56:57], -v[126:127]
	v_fma_f64 v[130:131], v[130:131], -0.5, v[14:15]
	v_add_f64 v[144:145], v[64:65], -v[126:127]
	v_add_f64 v[146:147], v[14:15], v[62:63]
	v_add_f64 v[154:155], v[36:37], -v[38:39]
	v_fma_f64 v[148:149], v[140:141], s[20:21], v[128:129]
	v_add_f64 v[150:151], v[18:19], -v[20:21]
	v_fma_f64 v[12:13], v[138:139], s[8:9], v[132:133]
	v_add_f64 v[122:123], v[10:11], v[122:123]
	v_fma_f64 v[152:153], v[142:143], s[20:21], v[130:131]
	v_add_f64 v[10:11], v[124:125], v[28:29]
	v_add_f64 v[124:125], v[146:147], v[64:65]
	;; [unrolled: 1-line block ×4, first 2 shown]
	v_fma_f64 v[146:147], v[150:151], s[16:17], v[148:149]
	v_fma_f64 v[12:13], v[144:145], s[14:15], v[12:13]
	v_mov_b32_e32 v148, 3
	v_fma_f64 v[152:153], v[154:155], s[16:17], v[152:153]
	v_add_f64 v[156:157], v[10:11], v[30:31]
	v_add_f64 v[124:125], v[124:125], v[126:127]
	v_mul_u32_u24_e32 v149, 0xf0, v134
	v_lshlrev_b32_sdwa v193, v148, v135 dst_sel:DWORD dst_unused:UNUSED_PAD src0_sel:DWORD src1_sel:BYTE_0
	v_add_f64 v[185:186], v[26:27], -v[24:25]
	v_fma_f64 v[12:13], v[120:121], s[18:19], v[12:13]
	v_add_f64 v[187:188], v[28:29], -v[30:31]
	v_fma_f64 v[10:11], v[122:123], s[18:19], v[152:153]
	v_add_f64 v[152:153], v[34:35], v[32:33]
	v_add_f64 v[191:192], v[124:125], v[56:57]
	v_fma_f64 v[14:15], v[189:190], -0.5, v[14:15]
	v_fma_f64 v[4:5], v[183:184], -0.5, v[4:5]
	v_add_f64 v[62:63], v[64:65], -v[62:63]
	v_mul_f64 v[134:135], v[12:13], s[16:17]
	v_add_f64 v[183:184], v[185:186], v[187:188]
	v_add_f64 v[185:186], v[38:39], -v[32:33]
	v_fma_f64 v[124:125], v[152:153], -0.5, v[2:3]
	v_add_f64 v[56:57], v[126:127], -v[56:57]
	v_fma_f64 v[126:127], v[154:155], s[8:9], v[14:15]
	v_fma_f64 v[132:133], v[138:139], s[20:21], v[132:133]
	;; [unrolled: 1-line block ×4, first 2 shown]
	v_add_f64 v[134:135], v[36:37], -v[34:35]
	v_fma_f64 v[187:188], v[150:151], s[8:9], v[4:5]
	v_fma_f64 v[64:65], v[144:145], s[20:21], v[124:125]
	;; [unrolled: 1-line block ×3, first 2 shown]
	v_add_f64 v[56:57], v[62:63], v[56:57]
	v_fma_f64 v[62:63], v[142:143], s[16:17], v[126:127]
	v_fma_f64 v[126:127], v[142:143], s[8:9], v[130:131]
	;; [unrolled: 1-line block ×3, first 2 shown]
	v_add_f64 v[134:135], v[134:135], v[185:186]
	v_fma_f64 v[4:5], v[150:151], s[20:21], v[4:5]
	v_fma_f64 v[64:65], v[138:139], s[14:15], v[64:65]
	;; [unrolled: 1-line block ×6, first 2 shown]
	v_add3_u32 v138, 0, v149, v193
	v_add_f64 v[189:190], v[58:59], -v[60:61]
	v_fma_f64 v[4:5], v[140:141], s[14:15], v[4:5]
	v_fma_f64 v[132:133], v[134:135], s[18:19], v[64:65]
	;; [unrolled: 1-line block ×9, first 2 shown]
	v_mul_f64 v[120:121], v[132:133], s[20:21]
	v_fma_f64 v[130:131], v[56:57], s[18:19], v[64:65]
	v_mul_f64 v[56:57], v[134:135], s[20:21]
	v_fma_f64 v[64:65], v[150:151], s[14:15], v[128:129]
	v_fma_f64 v[122:123], v[122:123], s[18:19], v[62:63]
	v_mul_f64 v[62:63], v[124:125], s[16:17]
	v_add_f64 v[139:140], v[156:157], v[191:192]
	v_add_f64 v[141:142], v[146:147], v[152:153]
	v_fma_f64 v[120:121], v[14:15], s[18:19], v[120:121]
	v_add_f64 v[154:155], v[156:157], -v[191:192]
	v_fma_f64 v[56:57], v[130:131], s[24:25], v[56:57]
	v_fma_f64 v[118:119], v[118:119], s[18:19], v[64:65]
	v_add_f64 v[145:146], v[146:147], -v[152:153]
	v_fma_f64 v[128:129], v[122:123], s[26:27], v[62:63]
	ds_read2_b64 v[62:65], v165 offset1:90
	s_waitcnt lgkmcnt(0)
	v_add_f64 v[143:144], v[126:127], v[120:121]
	v_add_f64 v[120:121], v[126:127], -v[120:121]
	v_add_f64 v[149:150], v[4:5], v[56:57]
	v_add_f64 v[4:5], v[4:5], -v[56:57]
	v_add_f64 v[56:57], v[116:117], v[100:101]
	v_add_f64 v[156:157], v[118:119], v[128:129]
	s_barrier
	ds_write2_b64 v138, v[139:140], v[141:142] offset1:3
	ds_write2_b64 v138, v[143:144], v[149:150] offset0:6 offset1:9
	ds_write2_b64 v138, v[156:157], v[154:155] offset0:12 offset1:15
	;; [unrolled: 1-line block ×3, first 2 shown]
	v_fma_f64 v[56:57], v[56:57], -0.5, v[112:113]
	v_add_f64 v[145:146], v[52:53], -v[54:55]
	v_add_f64 v[126:127], v[106:107], v[108:109]
	v_add_f64 v[143:144], v[58:59], v[60:61]
	v_add_f64 v[149:150], v[114:115], -v[116:117]
	v_add_f64 v[151:152], v[102:103], -v[100:101]
	;; [unrolled: 1-line block ×3, first 2 shown]
	v_add_f64 v[118:119], v[104:105], v[110:111]
	v_add_f64 v[128:129], v[104:105], -v[106:107]
	v_fma_f64 v[187:188], v[145:146], s[8:9], v[56:57]
	v_fma_f64 v[126:127], v[126:127], -0.5, v[6:7]
	v_add_f64 v[141:142], v[110:111], -v[108:109]
	v_add_f64 v[183:184], v[80:81], -v[92:93]
	v_fma_f64 v[143:144], v[143:144], -0.5, v[50:51]
	v_add_f64 v[185:186], v[114:115], -v[102:103]
	v_add_f64 v[149:150], v[149:150], v[151:152]
	v_add_f64 v[151:152], v[50:51], v[52:53]
	v_fma_f64 v[187:188], v[189:190], s[14:15], v[187:188]
	v_add_f64 v[120:121], v[6:7], v[104:105]
	v_add_f64 v[153:154], v[52:53], -v[58:59]
	v_add_f64 v[155:156], v[54:55], -v[60:61]
	v_fma_f64 v[191:192], v[183:184], s[20:21], v[126:127]
	v_add_f64 v[193:194], v[90:91], -v[88:89]
	v_fma_f64 v[195:196], v[185:186], s[20:21], v[143:144]
	v_add_f64 v[197:198], v[116:117], -v[100:101]
	v_fma_f64 v[6:7], v[118:119], -0.5, v[6:7]
	v_add_f64 v[141:142], v[128:129], v[141:142]
	v_add_f64 v[128:129], v[151:152], v[58:59]
	v_fma_f64 v[118:119], v[149:150], s[18:19], v[187:188]
	v_add_f64 v[187:188], v[114:115], v[102:103]
	v_add_f64 v[153:154], v[153:154], v[155:156]
	v_fma_f64 v[151:152], v[193:194], s[16:17], v[191:192]
	v_fma_f64 v[155:156], v[197:198], s[16:17], v[195:196]
	v_add_f64 v[191:192], v[106:107], -v[104:105]
	v_add_f64 v[195:196], v[108:109], -v[110:111]
	v_add_f64 v[199:200], v[52:53], v[54:55]
	v_add_f64 v[201:202], v[128:129], v[60:61]
	v_fma_f64 v[128:129], v[187:188], -0.5, v[112:113]
	v_add_f64 v[52:53], v[58:59], -v[52:53]
	v_add_f64 v[58:59], v[60:61], -v[54:55]
	;; [unrolled: 1-line block ×3, first 2 shown]
	v_fma_f64 v[56:57], v[145:146], s[20:21], v[56:57]
	v_add_f64 v[187:188], v[191:192], v[195:196]
	v_fma_f64 v[50:51], v[199:200], -0.5, v[50:51]
	v_add_f64 v[191:192], v[100:101], -v[102:103]
	v_fma_f64 v[195:196], v[189:190], s[20:21], v[128:129]
	v_fma_f64 v[128:129], v[189:190], s[8:9], v[128:129]
	v_add_f64 v[120:121], v[120:121], v[106:107]
	v_fma_f64 v[143:144], v[185:186], s[8:9], v[143:144]
	v_fma_f64 v[56:57], v[189:190], s[16:17], v[56:57]
	;; [unrolled: 1-line block ×5, first 2 shown]
	v_add_f64 v[60:61], v[60:61], v[191:192]
	v_fma_f64 v[191:192], v[145:146], s[14:15], v[195:196]
	v_fma_f64 v[128:129], v[145:146], s[16:17], v[128:129]
	v_add_f64 v[120:121], v[120:121], v[108:109]
	v_fma_f64 v[6:7], v[193:194], s[20:21], v[6:7]
	v_add_f64 v[52:53], v[52:53], v[58:59]
	v_fma_f64 v[58:59], v[185:186], s[16:17], v[205:206]
	v_fma_f64 v[50:51], v[185:186], s[14:15], v[50:51]
	;; [unrolled: 1-line block ×8, first 2 shown]
	v_add_f64 v[203:204], v[120:121], v[110:111]
	v_fma_f64 v[120:121], v[153:154], s[18:19], v[155:156]
	v_mul_f64 v[155:156], v[118:119], s[16:17]
	v_fma_f64 v[6:7], v[183:184], s[14:15], v[6:7]
	v_fma_f64 v[143:144], v[52:53], s[18:19], v[58:59]
	;; [unrolled: 1-line block ×3, first 2 shown]
	v_mul_f64 v[50:51], v[185:186], s[20:21]
	v_mul_f64 v[52:53], v[189:190], s[20:21]
	v_fma_f64 v[56:57], v[193:194], s[14:15], v[60:61]
	v_fma_f64 v[126:127], v[153:154], s[18:19], v[126:127]
	v_mul_f64 v[58:59], v[128:129], s[16:17]
	v_fma_f64 v[151:152], v[141:142], s[18:19], v[151:152]
	v_add_f64 v[54:55], v[201:202], v[54:55]
	v_fma_f64 v[60:61], v[120:121], s[22:23], v[155:156]
	v_fma_f64 v[145:146], v[187:188], s[18:19], v[145:146]
	v_fma_f64 v[6:7], v[187:188], s[18:19], v[6:7]
	v_fma_f64 v[50:51], v[143:144], s[18:19], v[50:51]
	v_fma_f64 v[52:53], v[149:150], s[24:25], v[52:53]
	v_fma_f64 v[56:57], v[141:142], s[18:19], v[56:57]
	v_fma_f64 v[58:59], v[126:127], s[26:27], v[58:59]
	ds_write2_b64 v138, v[4:5], v[139:140] offset0:24 offset1:27
	v_add_f64 v[4:5], v[203:204], v[54:55]
	v_add_f64 v[139:140], v[151:152], v[60:61]
	v_add_f64 v[54:55], v[203:204], -v[54:55]
	v_add_f64 v[141:142], v[145:146], v[50:51]
	v_add_f64 v[153:154], v[6:7], v[52:53]
	v_add_f64 v[60:61], v[151:152], -v[60:61]
	v_add_f64 v[155:156], v[56:57], v[58:59]
	v_add_f64 v[50:51], v[145:146], -v[50:51]
	v_add_f64 v[6:7], v[6:7], -v[52:53]
	;; [unrolled: 1-line block ×3, first 2 shown]
	v_mul_u32_u24_e32 v147, 0xf0, v180
	v_lshlrev_b32_sdwa v58, v148, v137 dst_sel:DWORD dst_unused:UNUSED_PAD src0_sel:DWORD src1_sel:BYTE_0
	v_add3_u32 v137, 0, v147, v58
	v_add_f64 v[56:57], v[86:87], v[94:95]
	ds_write2_b64 v137, v[4:5], v[139:140] offset1:3
	ds_write2_b64 v137, v[141:142], v[153:154] offset0:6 offset1:9
	ds_write2_b64 v137, v[155:156], v[54:55] offset0:12 offset1:15
	;; [unrolled: 1-line block ×4, first 2 shown]
	v_add_f64 v[50:51], v[76:77], v[98:99]
	v_add_f64 v[4:5], v[78:79], v[74:75]
	;; [unrolled: 1-line block ×3, first 2 shown]
	v_add_f64 v[54:55], v[76:77], -v[86:87]
	v_add_f64 v[58:59], v[42:43], -v[44:45]
	v_add_f64 v[60:61], v[44:45], v[46:47]
	v_fma_f64 v[6:7], v[56:57], -0.5, v[0:1]
	v_add_f64 v[56:57], v[98:99], -v[94:95]
	v_add_f64 v[141:142], v[70:71], -v[78:79]
	;; [unrolled: 1-line block ×5, first 2 shown]
	v_add_f64 v[155:156], v[40:41], v[42:43]
	v_fma_f64 v[0:1], v[50:51], -0.5, v[0:1]
	v_add_f64 v[50:51], v[42:43], v[48:49]
	v_fma_f64 v[4:5], v[4:5], -0.5, v[66:67]
	v_add_f64 v[139:140], v[42:43], -v[48:49]
	v_fma_f64 v[60:61], v[60:61], -0.5, v[40:41]
	v_add_f64 v[141:142], v[141:142], v[145:146]
	v_fma_f64 v[145:146], v[153:154], s[20:21], v[6:7]
	v_add_f64 v[193:194], v[82:83], -v[72:73]
	v_add_f64 v[155:156], v[155:156], v[44:45]
	v_add_f64 v[197:198], v[78:79], -v[74:75]
	v_add_f64 v[54:55], v[54:55], v[56:57]
	v_add_f64 v[56:57], v[58:59], v[151:152]
	;; [unrolled: 1-line block ×3, first 2 shown]
	v_fma_f64 v[40:41], v[50:51], -0.5, v[40:41]
	v_add_f64 v[183:184], v[70:71], -v[96:97]
	v_fma_f64 v[187:188], v[139:140], s[8:9], v[4:5]
	v_add_f64 v[191:192], v[44:45], -v[46:47]
	v_fma_f64 v[58:59], v[193:194], s[16:17], v[145:146]
	v_add_f64 v[145:146], v[155:156], v[46:47]
	v_add_f64 v[42:43], v[44:45], -v[42:43]
	v_fma_f64 v[151:152], v[151:152], -0.5, v[66:67]
	v_add_f64 v[44:45], v[46:47], -v[48:49]
	v_fma_f64 v[46:47], v[197:198], s[8:9], v[40:41]
	v_fma_f64 v[195:196], v[183:184], s[20:21], v[60:61]
	;; [unrolled: 1-line block ×3, first 2 shown]
	v_add_f64 v[199:200], v[86:87], -v[76:77]
	v_add_f64 v[50:51], v[94:95], -v[98:99]
	;; [unrolled: 1-line block ×4, first 2 shown]
	v_fma_f64 v[205:206], v[191:192], s[20:21], v[151:152]
	v_fma_f64 v[151:152], v[191:192], s[8:9], v[151:152]
	v_add_f64 v[42:43], v[42:43], v[44:45]
	v_fma_f64 v[44:45], v[183:184], s[16:17], v[46:47]
	v_fma_f64 v[4:5], v[139:140], s[20:21], v[4:5]
	v_add_f64 v[52:53], v[52:53], v[86:87]
	v_fma_f64 v[155:156], v[197:198], s[16:17], v[195:196]
	v_fma_f64 v[187:188], v[141:142], s[18:19], v[187:188]
	;; [unrolled: 1-line block ×3, first 2 shown]
	v_add_f64 v[201:202], v[201:202], v[203:204]
	v_fma_f64 v[203:204], v[139:140], s[14:15], v[205:206]
	v_fma_f64 v[151:152], v[139:140], s[16:17], v[151:152]
	v_add_f64 v[46:47], v[199:200], v[50:51]
	v_fma_f64 v[199:200], v[42:43], s[18:19], v[44:45]
	v_fma_f64 v[44:45], v[183:184], s[8:9], v[60:61]
	;; [unrolled: 1-line block ×3, first 2 shown]
	v_add_f64 v[52:53], v[52:53], v[94:95]
	v_add_f64 v[145:146], v[145:146], v[48:49]
	v_fma_f64 v[155:156], v[56:57], s[18:19], v[155:156]
	v_mul_f64 v[195:196], v[187:188], s[16:17]
	v_fma_f64 v[48:49], v[193:194], s[8:9], v[0:1]
	v_fma_f64 v[0:1], v[193:194], s[20:21], v[0:1]
	;; [unrolled: 1-line block ×8, first 2 shown]
	v_add_f64 v[52:53], v[52:53], v[98:99]
	v_fma_f64 v[58:59], v[54:55], s[18:19], v[58:59]
	v_fma_f64 v[48:49], v[153:154], s[16:17], v[48:49]
	;; [unrolled: 1-line block ×4, first 2 shown]
	v_mul_f64 v[40:41], v[139:140], s[20:21]
	v_mul_f64 v[42:43], v[151:152], s[20:21]
	v_fma_f64 v[50:51], v[155:156], s[22:23], v[195:196]
	v_fma_f64 v[6:7], v[193:194], s[14:15], v[6:7]
	v_fma_f64 v[153:154], v[56:57], s[18:19], v[44:45]
	v_mul_f64 v[44:45], v[141:142], s[16:17]
	v_fma_f64 v[48:49], v[46:47], s[18:19], v[48:49]
	v_fma_f64 v[0:1], v[46:47], s[18:19], v[0:1]
	;; [unrolled: 1-line block ×4, first 2 shown]
	v_add_f64 v[42:43], v[52:53], v[145:146]
	v_add_f64 v[46:47], v[58:59], v[50:51]
	v_fma_f64 v[6:7], v[54:55], s[18:19], v[6:7]
	v_fma_f64 v[44:45], v[153:154], s[26:27], v[44:45]
	v_mul_u32_u24_e32 v147, 0xf0, v182
	v_lshlrev_b32_e32 v157, 3, v181
	v_add3_u32 v147, 0, v147, v157
	v_add_f64 v[56:57], v[48:49], v[4:5]
	v_add_f64 v[60:61], v[0:1], v[40:41]
	ds_write2_b64 v147, v[42:43], v[46:47] offset1:3
	v_add_f64 v[2:3], v[2:3], v[34:35]
	v_add_f64 v[34:35], v[52:53], -v[145:146]
	v_add_f64 v[24:25], v[24:25], -v[30:31]
	v_add_f64 v[30:31], v[62:63], v[16:17]
	v_add_f64 v[42:43], v[6:7], v[44:45]
	v_add_f64 v[46:47], v[58:59], -v[50:51]
	v_add_f64 v[4:5], v[48:49], -v[4:5]
	;; [unrolled: 1-line block ×4, first 2 shown]
	v_add_f64 v[54:55], v[18:19], v[20:21]
	ds_write2_b64 v147, v[56:57], v[60:61] offset0:6 offset1:9
	v_add_f64 v[2:3], v[2:3], v[36:37]
	v_add_f64 v[180:181], v[26:27], -v[28:29]
	v_add_f64 v[26:27], v[30:31], v[18:19]
	v_mul_f64 v[12:13], v[12:13], s[22:23]
	ds_write2_b64 v147, v[42:43], v[34:35] offset0:12 offset1:15
	ds_write2_b64 v147, v[46:47], v[4:5] offset0:18 offset1:21
	ds_write2_b64 v147, v[0:1], v[6:7] offset0:24 offset1:27
	v_add_f64 v[0:1], v[16:17], v[22:23]
	v_fma_f64 v[145:146], v[54:55], -0.5, v[62:63]
	v_add_f64 v[36:37], v[16:17], -v[18:19]
	v_add_f64 v[2:3], v[2:3], v[38:39]
	v_add_f64 v[50:51], v[22:23], -v[20:21]
	v_add_f64 v[26:27], v[26:27], v[20:21]
	v_fma_f64 v[10:11], v[10:11], s[14:15], v[12:13]
	v_mul_f64 v[132:133], v[132:133], s[18:19]
	v_fma_f64 v[12:13], v[0:1], -0.5, v[62:63]
	v_fma_f64 v[28:29], v[24:25], s[8:9], v[145:146]
	v_mul_f64 v[134:135], v[134:135], s[24:25]
	v_add_f64 v[193:194], v[2:3], v[32:33]
	v_add_f64 v[32:33], v[20:21], -v[22:23]
	v_add_f64 v[195:196], v[26:27], v[22:23]
	v_add_f64 v[26:27], v[18:19], -v[16:17]
	v_add_f64 v[191:192], v[36:37], v[50:51]
	v_fma_f64 v[34:35], v[180:181], s[20:21], v[12:13]
	v_fma_f64 v[12:13], v[180:181], s[8:9], v[12:13]
	;; [unrolled: 1-line block ×6, first 2 shown]
	v_add_f64 v[26:27], v[26:27], v[32:33]
	v_mul_f64 v[124:125], v[124:125], s[26:27]
	v_fma_f64 v[201:202], v[24:25], s[14:15], v[34:35]
	v_fma_f64 v[12:13], v[24:25], s[16:17], v[12:13]
	;; [unrolled: 1-line block ×4, first 2 shown]
	v_add_f64 v[145:146], v[195:196], v[193:194]
	s_waitcnt lgkmcnt(0)
	s_barrier
	v_fma_f64 v[122:123], v[122:123], s[14:15], v[124:125]
	v_fma_f64 v[201:202], v[26:27], s[18:19], v[201:202]
	;; [unrolled: 1-line block ×3, first 2 shown]
	v_add_f64 v[180:181], v[197:198], v[10:11]
	v_add_f64 v[124:125], v[90:91], v[88:89]
	ds_read2_b64 v[4:7], v165 offset1:90
	ds_read2_b64 v[0:3], v168 offset0:52 offset1:142
	ds_read2_b64 v[60:63], v174 offset0:28 offset1:118
	;; [unrolled: 1-line block ×11, first 2 shown]
	v_add_f64 v[205:206], v[201:202], v[132:133]
	v_add_f64 v[207:208], v[203:204], v[130:131]
	ds_read2_b64 v[32:35], v176 offset0:160 offset1:250
	ds_read2_b64 v[24:27], v170 offset0:60 offset1:150
	;; [unrolled: 1-line block ×3, first 2 shown]
	s_waitcnt lgkmcnt(0)
	s_barrier
	ds_write2_b64 v138, v[145:146], v[180:181] offset1:3
	ds_write2_b64 v138, v[205:206], v[207:208] offset0:6 offset1:9
	v_add_f64 v[145:146], v[80:81], v[92:93]
	v_fma_f64 v[134:135], v[191:192], s[18:19], v[134:135]
	v_add_f64 v[112:113], v[112:113], v[114:115]
	v_fma_f64 v[124:125], v[124:125], -0.5, v[64:65]
	v_add_f64 v[191:192], v[64:65], v[80:81]
	v_add_f64 v[104:105], v[104:105], -v[110:111]
	v_add_f64 v[106:107], v[106:107], -v[108:109]
	;; [unrolled: 1-line block ×3, first 2 shown]
	v_fma_f64 v[64:65], v[145:146], -0.5, v[64:65]
	v_add_f64 v[80:81], v[90:91], -v[80:81]
	v_add_f64 v[108:109], v[112:113], v[116:117]
	v_add_f64 v[112:113], v[92:93], -v[88:89]
	v_add_f64 v[116:117], v[191:192], v[90:91]
	v_fma_f64 v[145:146], v[104:105], s[8:9], v[124:125]
	v_add_f64 v[90:91], v[88:89], -v[92:93]
	v_add_f64 v[180:181], v[195:196], -v[193:194]
	v_fma_f64 v[191:192], v[106:107], s[20:21], v[64:65]
	v_fma_f64 v[64:65], v[106:107], s[8:9], v[64:65]
	v_add_f64 v[100:101], v[108:109], v[100:101]
	v_add_f64 v[108:109], v[110:111], v[112:113]
	v_mul_f64 v[110:111], v[118:119], s[22:23]
	v_add_f64 v[88:89], v[116:117], v[88:89]
	v_fma_f64 v[112:113], v[106:107], s[14:15], v[145:146]
	v_add_f64 v[80:81], v[80:81], v[90:91]
	v_fma_f64 v[90:91], v[104:105], s[14:15], v[191:192]
	v_fma_f64 v[64:65], v[104:105], s[16:17], v[64:65]
	v_mul_f64 v[116:117], v[185:186], s[18:19]
	v_mul_f64 v[118:119], v[189:190], s[24:25]
	v_add_f64 v[100:101], v[100:101], v[102:103]
	v_fma_f64 v[102:103], v[120:121], s[14:15], v[110:111]
	v_add_f64 v[88:89], v[88:89], v[92:93]
	v_fma_f64 v[92:93], v[108:109], s[18:19], v[112:113]
	;; [unrolled: 2-line block ×3, first 2 shown]
	v_add_f64 v[10:11], v[197:198], -v[10:11]
	v_add_f64 v[112:113], v[201:202], -v[132:133]
	v_fma_f64 v[90:91], v[80:81], s[18:19], v[90:91]
	v_fma_f64 v[64:65], v[80:81], s[18:19], v[64:65]
	;; [unrolled: 1-line block ×4, first 2 shown]
	v_add_f64 v[116:117], v[203:204], -v[130:131]
	v_add_f64 v[118:119], v[134:135], -v[122:123]
	v_add_f64 v[120:121], v[88:89], v[100:101]
	v_add_f64 v[122:123], v[92:93], v[102:103]
	v_fma_f64 v[104:105], v[106:107], s[16:17], v[104:105]
	ds_write2_b64 v138, v[114:115], v[180:181] offset0:12 offset1:15
	ds_write2_b64 v138, v[10:11], v[112:113] offset0:18 offset1:21
	;; [unrolled: 1-line block ×3, first 2 shown]
	ds_write2_b64 v137, v[120:121], v[122:123] offset1:3
	v_add_f64 v[10:11], v[82:83], v[72:73]
	v_add_f64 v[124:125], v[90:91], v[80:81]
	v_add_f64 v[80:81], v[90:91], -v[80:81]
	v_fma_f64 v[104:105], v[108:109], s[18:19], v[104:105]
	v_add_f64 v[108:109], v[68:69], v[84:85]
	v_add_f64 v[90:91], v[8:9], v[68:69]
	v_add_f64 v[76:77], v[76:77], -v[98:99]
	v_add_f64 v[66:67], v[66:67], v[70:71]
	v_fma_f64 v[10:11], v[10:11], -0.5, v[8:9]
	v_add_f64 v[86:87], v[86:87], -v[94:95]
	v_add_f64 v[94:95], v[68:69], -v[82:83]
	;; [unrolled: 1-line block ×3, first 2 shown]
	v_fma_f64 v[8:9], v[108:109], -0.5, v[8:9]
	v_add_f64 v[70:71], v[90:91], v[82:83]
	v_add_f64 v[68:69], v[82:83], -v[68:69]
	v_add_f64 v[82:83], v[72:73], -v[84:85]
	v_fma_f64 v[90:91], v[76:77], s[8:9], v[10:11]
	v_fma_f64 v[10:11], v[76:77], s[20:21], v[10:11]
	v_add_f64 v[66:67], v[66:67], v[78:79]
	v_add_f64 v[88:89], v[88:89], -v[100:101]
	v_fma_f64 v[100:101], v[86:87], s[20:21], v[8:9]
	v_fma_f64 v[8:9], v[86:87], s[8:9], v[8:9]
	v_add_f64 v[78:79], v[94:95], v[98:99]
	v_add_f64 v[70:71], v[70:71], v[72:73]
	v_fma_f64 v[90:91], v[86:87], s[14:15], v[90:91]
	v_mul_f64 v[106:107], v[128:129], s[26:27]
	v_fma_f64 v[10:11], v[86:87], s[16:17], v[10:11]
	v_add_f64 v[68:69], v[68:69], v[82:83]
	v_add_f64 v[66:67], v[66:67], v[74:75]
	v_mul_f64 v[82:83], v[187:188], s[22:23]
	v_fma_f64 v[72:73], v[76:77], s[14:15], v[100:101]
	v_fma_f64 v[8:9], v[76:77], s[16:17], v[8:9]
	v_add_f64 v[70:71], v[70:71], v[84:85]
	v_mul_f64 v[84:85], v[139:140], s[18:19]
	v_fma_f64 v[86:87], v[78:79], s[18:19], v[90:91]
	v_mul_f64 v[90:91], v[151:152], s[24:25]
	v_mul_f64 v[94:95], v[141:142], s[26:27]
	v_fma_f64 v[106:107], v[126:127], s[14:15], v[106:107]
	v_add_f64 v[66:67], v[66:67], v[96:97]
	v_fma_f64 v[10:11], v[78:79], s[18:19], v[10:11]
	v_fma_f64 v[78:79], v[155:156], s[14:15], v[82:83]
	;; [unrolled: 1-line block ×7, first 2 shown]
	v_add_f64 v[130:131], v[64:65], v[110:111]
	v_add_f64 v[74:75], v[104:105], v[106:107]
	v_add_f64 v[92:93], v[92:93], -v[102:103]
	v_add_f64 v[64:65], v[64:65], -v[110:111]
	;; [unrolled: 1-line block ×3, first 2 shown]
	v_add_f64 v[90:91], v[70:71], v[66:67]
	v_add_f64 v[66:67], v[70:71], -v[66:67]
	v_add_f64 v[70:71], v[86:87], v[78:79]
	v_add_f64 v[78:79], v[86:87], -v[78:79]
	;; [unrolled: 2-line block ×3, first 2 shown]
	v_add_f64 v[82:83], v[8:9], v[68:69]
	v_add_f64 v[94:95], v[10:11], v[84:85]
	v_add_f64 v[8:9], v[8:9], -v[68:69]
	v_add_f64 v[10:11], v[10:11], -v[84:85]
	ds_write2_b64 v137, v[124:125], v[130:131] offset0:6 offset1:9
	ds_write2_b64 v137, v[74:75], v[88:89] offset0:12 offset1:15
	ds_write2_b64 v137, v[92:93], v[80:81] offset0:18 offset1:21
	ds_write2_b64 v137, v[64:65], v[76:77] offset0:24 offset1:27
	ds_write2_b64 v147, v[90:91], v[70:71] offset1:3
	ds_write2_b64 v147, v[86:87], v[82:83] offset0:6 offset1:9
	ds_write2_b64 v147, v[94:95], v[66:67] offset0:12 offset1:15
	;; [unrolled: 1-line block ×4, first 2 shown]
	v_mul_lo_u16_sdwa v8, v164, s28 dst_sel:DWORD dst_unused:UNUSED_PAD src0_sel:BYTE_0 src1_sel:DWORD
	v_lshrrev_b16_e32 v126, 12, v8
	v_mul_lo_u16_e32 v8, 30, v126
	v_sub_u16_e32 v127, v164, v8
	v_mul_u32_u24_sdwa v8, v127, v136 dst_sel:DWORD dst_unused:UNUSED_PAD src0_sel:BYTE_0 src1_sel:DWORD
	v_lshlrev_b32_e32 v8, 4, v8
	s_waitcnt lgkmcnt(0)
	s_barrier
	global_load_dwordx4 v[68:71], v8, s[12:13] offset:448
	v_mul_lo_u16_sdwa v9, v158, s28 dst_sel:DWORD dst_unused:UNUSED_PAD src0_sel:BYTE_0 src1_sel:DWORD
	v_lshrrev_b16_e32 v149, 12, v9
	v_mul_lo_u16_e32 v9, 30, v149
	v_sub_u16_e32 v150, v158, v9
	v_mul_u32_u24_sdwa v9, v150, v136 dst_sel:DWORD dst_unused:UNUSED_PAD src0_sel:BYTE_0 src1_sel:DWORD
	v_lshlrev_b32_e32 v100, 4, v9
	global_load_dwordx4 v[72:75], v100, s[12:13] offset:448
	global_load_dwordx4 v[76:79], v8, s[12:13] offset:480
	;; [unrolled: 1-line block ×8, first 2 shown]
	s_mov_b32 s28, 0x8889
	v_mul_u32_u24_sdwa v9, v159, s28 dst_sel:DWORD dst_unused:UNUSED_PAD src0_sel:WORD_0 src1_sel:DWORD
	v_lshrrev_b32_e32 v152, 20, v9
	v_mul_lo_u16_e32 v9, 30, v152
	v_sub_u16_e32 v151, v159, v9
	v_mul_u32_u24_e32 v9, 9, v151
	v_lshlrev_b32_e32 v101, 4, v9
	global_load_dwordx4 v[128:131], v101, s[12:13] offset:432
	global_load_dwordx4 v[132:135], v8, s[12:13] offset:464
	;; [unrolled: 1-line block ×5, first 2 shown]
	ds_read2_b64 v[84:87], v174 offset0:28 offset1:118
	global_load_dwordx4 v[153:156], v8, s[12:13] offset:496
	global_load_dwordx4 v[180:183], v101, s[12:13] offset:480
	;; [unrolled: 1-line block ×9, first 2 shown]
	ds_read2_b64 v[120:123], v169 offset0:56 offset1:146
	global_load_dwordx4 v[200:203], v100, s[12:13] offset:528
	global_load_dwordx4 v[208:211], v101, s[12:13] offset:544
	;; [unrolled: 1-line block ×3, first 2 shown]
	v_mul_u32_u24_e32 v157, 0x960, v126
	s_waitcnt vmcnt(25) lgkmcnt(1)
	v_mul_f64 v[9:10], v[84:85], v[70:71]
	v_mul_f64 v[70:71], v[60:61], v[70:71]
	v_fma_f64 v[124:125], v[60:61], v[68:69], v[9:10]
	s_waitcnt vmcnt(24)
	v_mul_f64 v[9:10], v[86:87], v[74:75]
	v_fma_f64 v[118:119], v[84:85], v[68:69], -v[70:71]
	v_mul_f64 v[68:69], v[62:63], v[74:75]
	s_waitcnt vmcnt(23)
	v_mul_f64 v[74:75], v[56:57], v[78:79]
	s_waitcnt lgkmcnt(0)
	v_mul_f64 v[70:71], v[120:121], v[78:79]
	s_waitcnt vmcnt(22)
	v_mul_f64 v[78:79], v[58:59], v[82:83]
	v_fma_f64 v[102:103], v[62:63], v[72:73], v[9:10]
	v_mul_f64 v[9:10], v[122:123], v[82:83]
	ds_read2_b64 v[60:63], v178 offset0:84 offset1:174
	v_fma_f64 v[86:87], v[86:87], v[72:73], -v[68:69]
	v_fma_f64 v[120:121], v[120:121], v[76:77], -v[74:75]
	s_waitcnt vmcnt(21)
	v_mul_f64 v[74:75], v[52:53], v[90:91]
	v_fma_f64 v[56:57], v[56:57], v[76:77], v[70:71]
	s_waitcnt lgkmcnt(0)
	v_mul_f64 v[72:73], v[60:61], v[90:91]
	ds_read2_b64 v[68:71], v173 offset0:112 offset1:202
	v_fma_f64 v[104:105], v[58:59], v[80:81], v[9:10]
	global_load_dwordx4 v[8:11], v8, s[12:13] offset:560
	v_fma_f64 v[90:91], v[122:123], v[80:81], -v[78:79]
	s_waitcnt vmcnt(20)
	v_mul_f64 v[78:79], v[48:49], v[98:99]
	v_fma_f64 v[122:123], v[60:61], v[88:89], -v[74:75]
	v_mul_f64 v[74:75], v[54:55], v[94:95]
	v_fma_f64 v[52:53], v[52:53], v[88:89], v[72:73]
	v_mul_f64 v[72:73], v[62:63], v[94:95]
	s_waitcnt lgkmcnt(0)
	v_mul_f64 v[76:77], v[68:69], v[98:99]
	ds_read2_b64 v[58:61], v171 offset0:104 offset1:194
	s_waitcnt vmcnt(19)
	v_mul_f64 v[82:83], v[50:51], v[108:109]
	v_mul_f64 v[80:81], v[70:71], v[108:109]
	s_waitcnt vmcnt(11)
	v_mul_f64 v[98:99], v[28:29], v[182:183]
	v_fma_f64 v[94:95], v[62:63], v[92:93], -v[74:75]
	s_waitcnt lgkmcnt(0)
	v_mul_f64 v[84:85], v[58:59], v[114:115]
	v_fma_f64 v[108:109], v[54:55], v[92:93], v[72:73]
	v_fma_f64 v[54:55], v[48:49], v[96:97], v[76:77]
	v_fma_f64 v[48:49], v[68:69], v[96:97], -v[78:79]
	v_fma_f64 v[92:93], v[70:71], v[106:107], -v[82:83]
	ds_read2_b64 v[70:73], v177 offset0:80 offset1:170
	v_mul_f64 v[62:63], v[44:45], v[114:115]
	v_mul_f64 v[68:69], v[46:47], v[130:131]
	ds_read2_b64 v[74:77], v167 offset0:132 offset1:222
	v_fma_f64 v[110:111], v[50:51], v[106:107], v[80:81]
	v_fma_f64 v[50:51], v[44:45], v[112:113], v[84:85]
	v_mul_f64 v[44:45], v[60:61], v[130:131]
	s_waitcnt lgkmcnt(1)
	v_mul_f64 v[78:79], v[72:73], v[134:135]
	v_mul_f64 v[80:81], v[38:39], v[134:135]
	;; [unrolled: 1-line block ×4, first 2 shown]
	s_waitcnt lgkmcnt(0)
	v_mul_f64 v[88:89], v[74:75], v[142:143]
	v_fma_f64 v[112:113], v[58:59], v[112:113], -v[62:63]
	v_fma_f64 v[68:69], v[60:61], v[128:129], -v[68:69]
	ds_read2_b64 v[60:63], v172 offset0:108 offset1:198
	v_fma_f64 v[44:45], v[46:47], v[128:129], v[44:45]
	v_fma_f64 v[58:59], v[38:39], v[132:133], v[78:79]
	v_fma_f64 v[38:39], v[72:73], v[132:133], -v[80:81]
	v_fma_f64 v[72:73], v[36:37], v[136:137], v[82:83]
	v_fma_f64 v[70:71], v[70:71], v[136:137], -v[84:85]
	v_fma_f64 v[46:47], v[40:41], v[140:141], v[88:89]
	v_mul_f64 v[36:37], v[40:41], v[142:143]
	v_mul_f64 v[40:41], v[76:77], v[146:147]
	;; [unrolled: 1-line block ×3, first 2 shown]
	s_waitcnt lgkmcnt(0)
	v_mul_f64 v[84:85], v[62:63], v[155:156]
	ds_read2_b64 v[78:81], v176 offset0:160 offset1:250
	v_mul_f64 v[88:89], v[30:31], v[155:156]
	v_mul_f64 v[96:97], v[60:61], v[182:183]
	ds_read2_b64 v[128:131], v170 offset0:60 offset1:150
	v_fma_f64 v[114:115], v[74:75], v[140:141], -v[36:37]
	s_waitcnt vmcnt(9) lgkmcnt(1)
	v_mul_f64 v[100:101], v[78:79], v[186:187]
	v_fma_f64 v[36:37], v[42:43], v[144:145], v[40:41]
	v_fma_f64 v[74:75], v[76:77], v[144:145], -v[82:83]
	v_fma_f64 v[42:43], v[30:31], v[153:154], v[84:85]
	v_fma_f64 v[30:31], v[62:63], v[153:154], -v[88:89]
	v_fma_f64 v[76:77], v[60:61], v[180:181], -v[98:99]
	ds_read2_b64 v[60:63], v166 offset0:8 offset1:98
	v_fma_f64 v[84:85], v[28:29], v[180:181], v[96:97]
	v_fma_f64 v[40:41], v[32:33], v[184:185], v[100:101]
	v_mul_f64 v[28:29], v[32:33], v[186:187]
	s_waitcnt vmcnt(7)
	v_mul_f64 v[32:33], v[80:81], v[190:191]
	v_mul_f64 v[82:83], v[34:35], v[190:191]
	s_waitcnt lgkmcnt(0)
	v_mul_f64 v[88:89], v[62:63], v[194:195]
	v_mul_f64 v[96:97], v[22:23], v[194:195]
	s_waitcnt vmcnt(5)
	v_mul_f64 v[98:99], v[60:61], v[198:199]
	v_mul_f64 v[100:101], v[20:21], v[198:199]
	s_waitcnt vmcnt(2)
	v_mul_f64 v[106:107], v[16:17], v[210:211]
	v_fma_f64 v[116:117], v[78:79], v[184:185], -v[28:29]
	v_fma_f64 v[28:29], v[34:35], v[188:189], v[32:33]
	v_fma_f64 v[78:79], v[80:81], v[188:189], -v[82:83]
	v_fma_f64 v[32:33], v[22:23], v[192:193], v[88:89]
	v_mul_f64 v[34:35], v[128:129], v[202:203]
	v_fma_f64 v[22:23], v[62:63], v[192:193], -v[96:97]
	v_fma_f64 v[96:97], v[20:21], v[196:197], v[98:99]
	v_fma_f64 v[80:81], v[60:61], v[196:197], -v[100:101]
	ds_read2_b64 v[60:63], v175 offset0:36 offset1:126
	v_mul_f64 v[20:21], v[24:25], v[202:203]
	v_mul_f64 v[88:89], v[26:27], v[206:207]
	;; [unrolled: 1-line block ×3, first 2 shown]
	v_fma_f64 v[24:25], v[24:25], v[200:201], v[34:35]
	s_waitcnt lgkmcnt(0)
	v_mul_f64 v[98:99], v[60:61], v[210:211]
	v_mul_f64 v[132:133], v[2:3], v[66:67]
	s_waitcnt vmcnt(0)
	v_mul_f64 v[34:35], v[62:63], v[10:11]
	v_mul_f64 v[10:11], v[18:19], v[10:11]
	v_fma_f64 v[100:101], v[128:129], v[200:201], -v[20:21]
	v_fma_f64 v[88:89], v[130:131], v[204:205], -v[88:89]
	ds_read2_b64 v[128:131], v179 offset0:88 offset1:178
	v_fma_f64 v[20:21], v[26:27], v[204:205], v[82:83]
	v_fma_f64 v[98:99], v[16:17], v[208:209], v[98:99]
	v_fma_f64 v[82:83], v[60:61], v[208:209], -v[106:107]
	v_fma_f64 v[26:27], v[18:19], v[8:9], v[34:35]
	s_waitcnt lgkmcnt(0)
	v_mul_f64 v[16:17], v[128:129], v[214:215]
	v_mul_f64 v[60:61], v[130:131], v[218:219]
	v_fma_f64 v[18:19], v[62:63], v[8:9], -v[10:11]
	ds_read2_b64 v[8:11], v168 offset0:52 offset1:142
	v_mul_f64 v[34:35], v[12:13], v[214:215]
	v_mul_f64 v[62:63], v[14:15], v[218:219]
	v_add_f64 v[136:137], v[124:125], -v[56:57]
	v_add_f64 v[138:139], v[54:55], -v[52:53]
	s_waitcnt lgkmcnt(0)
	v_mul_f64 v[134:135], v[10:11], v[66:67]
	v_fma_f64 v[16:17], v[12:13], v[212:213], v[16:17]
	v_fma_f64 v[12:13], v[14:15], v[216:217], v[60:61]
	v_fma_f64 v[10:11], v[10:11], v[64:65], -v[132:133]
	v_add_f64 v[14:15], v[30:31], v[22:23]
	v_fma_f64 v[106:107], v[128:129], v[212:213], -v[34:35]
	v_fma_f64 v[66:67], v[130:131], v[216:217], -v[62:63]
	v_add_f64 v[130:131], v[42:43], v[32:33]
	v_fma_f64 v[34:35], v[2:3], v[64:65], v[134:135]
	v_add_f64 v[134:135], v[58:59], -v[26:27]
	v_add_f64 v[60:61], v[136:137], v[138:139]
	v_add_f64 v[62:63], v[56:57], v[52:53]
	v_fma_f64 v[132:133], v[14:15], -0.5, v[10:11]
	v_add_f64 v[128:129], v[38:39], -v[30:31]
	v_add_f64 v[14:15], v[18:19], -v[22:23]
	v_add_f64 v[136:137], v[4:5], v[124:125]
	v_add_f64 v[138:139], v[34:35], v[58:59]
	v_fma_f64 v[130:131], v[130:131], -0.5, v[34:35]
	v_add_f64 v[142:143], v[38:39], -v[18:19]
	v_add_f64 v[146:147], v[42:43], -v[32:33]
	v_fma_f64 v[144:145], v[134:135], s[8:9], v[132:133]
	v_add_f64 v[2:3], v[58:59], -v[42:43]
	v_add_f64 v[64:65], v[26:27], -v[32:33]
	v_fma_f64 v[62:63], v[62:63], -0.5, v[4:5]
	v_add_f64 v[140:141], v[118:119], -v[48:49]
	v_add_f64 v[128:129], v[128:129], v[14:15]
	v_add_f64 v[14:15], v[136:137], v[56:57]
	v_add_f64 v[136:137], v[138:139], v[42:43]
	v_fma_f64 v[155:156], v[142:143], s[20:21], v[130:131]
	v_add_f64 v[180:181], v[30:31], -v[22:23]
	v_fma_f64 v[144:145], v[146:147], s[14:15], v[144:145]
	v_add_f64 v[153:154], v[120:121], -v[122:123]
	v_fma_f64 v[138:139], v[140:141], s[20:21], v[62:63]
	v_add_f64 v[64:65], v[2:3], v[64:65]
	v_add_f64 v[14:15], v[14:15], v[52:53]
	;; [unrolled: 1-line block ×4, first 2 shown]
	v_fma_f64 v[136:137], v[180:181], s[16:17], v[155:156]
	v_fma_f64 v[2:3], v[128:129], s[18:19], v[144:145]
	v_add_f64 v[144:145], v[38:39], v[18:19]
	v_lshlrev_b32_sdwa v192, v148, v127 dst_sel:DWORD dst_unused:UNUSED_PAD src0_sel:DWORD src1_sel:BYTE_0
	v_fma_f64 v[126:127], v[153:154], s[16:17], v[138:139]
	v_add_f64 v[138:139], v[56:57], -v[124:125]
	v_add_f64 v[155:156], v[52:53], -v[54:55]
	v_add_f64 v[186:187], v[58:59], v[26:27]
	v_add_f64 v[188:189], v[14:15], v[54:55]
	v_fma_f64 v[14:15], v[64:65], s[18:19], v[136:137]
	v_fma_f64 v[136:137], v[144:145], -0.5, v[10:11]
	v_fma_f64 v[4:5], v[184:185], -0.5, v[4:5]
	v_add_f64 v[42:43], v[42:43], -v[58:59]
	v_add_f64 v[58:59], v[30:31], -v[38:39]
	v_add_f64 v[144:145], v[138:139], v[155:156]
	v_fma_f64 v[34:35], v[186:187], -0.5, v[34:35]
	v_add_f64 v[138:139], v[22:23], -v[18:19]
	v_add_f64 v[32:33], v[32:33], -v[26:27]
	v_fma_f64 v[155:156], v[146:147], s[20:21], v[136:137]
	v_fma_f64 v[136:137], v[146:147], s[8:9], v[136:137]
	;; [unrolled: 1-line block ×7, first 2 shown]
	v_add_f64 v[58:59], v[58:59], v[138:139]
	v_fma_f64 v[138:139], v[134:135], s[14:15], v[155:156]
	v_fma_f64 v[134:135], v[134:135], s[16:17], v[136:137]
	;; [unrolled: 1-line block ×3, first 2 shown]
	v_add_f64 v[42:43], v[42:43], v[32:33]
	v_fma_f64 v[136:137], v[146:147], s[16:17], v[4:5]
	v_fma_f64 v[32:33], v[142:143], s[16:17], v[132:133]
	;; [unrolled: 1-line block ×3, first 2 shown]
	v_mul_f64 v[190:191], v[2:3], s[16:17]
	v_fma_f64 v[138:139], v[58:59], s[18:19], v[138:139]
	v_fma_f64 v[4:5], v[58:59], s[18:19], v[134:135]
	;; [unrolled: 1-line block ×9, first 2 shown]
	v_mul_f64 v[34:35], v[138:139], s[20:21]
	v_mul_f64 v[42:43], v[4:5], s[20:21]
	v_fma_f64 v[58:59], v[153:154], s[14:15], v[58:59]
	v_fma_f64 v[128:129], v[64:65], s[18:19], v[62:63]
	v_mul_f64 v[62:63], v[130:131], s[16:17]
	v_fma_f64 v[126:127], v[60:61], s[18:19], v[126:127]
	v_add_f64 v[26:27], v[182:183], v[26:27]
	v_fma_f64 v[64:65], v[14:15], s[22:23], v[190:191]
	v_fma_f64 v[134:135], v[144:145], s[18:19], v[155:156]
	;; [unrolled: 1-line block ×7, first 2 shown]
	v_add_f64 v[142:143], v[188:189], v[26:27]
	v_add_f64 v[144:145], v[126:127], v[64:65]
	v_add3_u32 v153, 0, v157, v192
	v_add_f64 v[26:27], v[188:189], -v[26:27]
	v_add_f64 v[146:147], v[134:135], v[34:35]
	v_add_f64 v[154:155], v[132:133], v[42:43]
	v_add_f64 v[64:65], v[126:127], -v[64:65]
	v_add_f64 v[156:157], v[58:59], v[140:141]
	v_add_f64 v[34:35], v[134:135], -v[34:35]
	ds_read2_b64 v[60:63], v165 offset1:90
	s_waitcnt lgkmcnt(0)
	s_barrier
	v_add_f64 v[126:127], v[104:105], v[108:109]
	ds_write2_b64 v153, v[142:143], v[144:145] offset1:30
	ds_write2_b64 v153, v[146:147], v[154:155] offset0:60 offset1:90
	ds_write2_b64 v153, v[156:157], v[26:27] offset0:120 offset1:150
	;; [unrolled: 1-line block ×3, first 2 shown]
	v_add_f64 v[26:27], v[132:133], -v[42:43]
	v_add_f64 v[42:43], v[58:59], -v[140:141]
	v_add_f64 v[140:141], v[40:41], v[24:25]
	v_add_f64 v[144:145], v[114:115], -v[116:117]
	v_add_f64 v[146:147], v[106:107], -v[100:101]
	v_add_f64 v[34:35], v[116:117], v[100:101]
	v_fma_f64 v[58:59], v[126:127], -0.5, v[6:7]
	v_add_f64 v[126:127], v[6:7], v[102:103]
	v_add_f64 v[132:133], v[102:103], -v[104:105]
	v_add_f64 v[134:135], v[110:111], -v[108:109]
	;; [unrolled: 1-line block ×5, first 2 shown]
	v_fma_f64 v[140:141], v[140:141], -0.5, v[50:51]
	v_add_f64 v[182:183], v[114:115], -v[106:107]
	v_add_f64 v[188:189], v[144:145], v[146:147]
	v_add_f64 v[144:145], v[50:51], v[46:47]
	v_fma_f64 v[34:35], v[34:35], -0.5, v[112:113]
	v_add_f64 v[142:143], v[46:47], -v[16:17]
	v_add_f64 v[126:127], v[126:127], v[104:105]
	v_fma_f64 v[146:147], v[180:181], s[20:21], v[58:59]
	v_add_f64 v[190:191], v[90:91], -v[94:95]
	v_fma_f64 v[192:193], v[182:183], s[20:21], v[140:141]
	v_add_f64 v[194:195], v[116:117], -v[100:101]
	v_add_f64 v[196:197], v[132:133], v[134:135]
	v_add_f64 v[132:133], v[154:155], v[156:157]
	;; [unrolled: 1-line block ×4, first 2 shown]
	v_fma_f64 v[184:185], v[142:143], s[8:9], v[34:35]
	v_add_f64 v[186:187], v[40:41], -v[24:25]
	v_add_f64 v[126:127], v[126:127], v[108:109]
	v_fma_f64 v[144:145], v[190:191], s[16:17], v[146:147]
	v_fma_f64 v[146:147], v[194:195], s[16:17], v[192:193]
	v_add_f64 v[192:193], v[46:47], v[16:17]
	v_add_f64 v[198:199], v[134:135], v[24:25]
	v_fma_f64 v[134:135], v[154:155], -0.5, v[112:113]
	v_add_f64 v[64:65], v[102:103], v[110:111]
	v_fma_f64 v[184:185], v[186:187], s[14:15], v[184:185]
	v_add_f64 v[200:201], v[126:127], v[110:111]
	v_fma_f64 v[202:203], v[196:197], s[18:19], v[144:145]
	v_fma_f64 v[126:127], v[132:133], s[18:19], v[146:147]
	v_fma_f64 v[50:51], v[192:193], -0.5, v[50:51]
	v_add_f64 v[40:41], v[40:41], -v[46:47]
	v_add_f64 v[46:47], v[116:117], -v[114:115]
	;; [unrolled: 1-line block ×3, first 2 shown]
	v_fma_f64 v[146:147], v[186:187], s[20:21], v[134:135]
	v_fma_f64 v[134:135], v[186:187], s[8:9], v[134:135]
	;; [unrolled: 1-line block ×3, first 2 shown]
	v_fma_f64 v[6:7], v[64:65], -0.5, v[6:7]
	v_fma_f64 v[64:65], v[188:189], s[18:19], v[184:185]
	v_add_f64 v[156:157], v[104:105], -v[102:103]
	v_add_f64 v[184:185], v[108:109], -v[110:111]
	;; [unrolled: 1-line block ×3, first 2 shown]
	v_fma_f64 v[192:193], v[194:195], s[8:9], v[50:51]
	v_fma_f64 v[50:51], v[194:195], s[20:21], v[50:51]
	v_add_f64 v[46:47], v[46:47], v[144:145]
	v_fma_f64 v[144:145], v[142:143], s[14:15], v[146:147]
	v_fma_f64 v[134:135], v[142:143], s[16:17], v[134:135]
	;; [unrolled: 1-line block ×4, first 2 shown]
	v_add_f64 v[156:157], v[156:157], v[184:185]
	v_fma_f64 v[184:185], v[190:191], s[8:9], v[6:7]
	v_fma_f64 v[6:7], v[190:191], s[20:21], v[6:7]
	v_add_f64 v[24:25], v[40:41], v[24:25]
	v_fma_f64 v[40:41], v[182:183], s[16:17], v[192:193]
	v_fma_f64 v[50:51], v[182:183], s[14:15], v[50:51]
	;; [unrolled: 1-line block ×7, first 2 shown]
	v_mul_f64 v[154:155], v[64:65], s[16:17]
	v_fma_f64 v[184:185], v[180:181], s[16:17], v[184:185]
	v_fma_f64 v[6:7], v[180:181], s[14:15], v[6:7]
	;; [unrolled: 1-line block ×4, first 2 shown]
	v_mul_f64 v[24:25], v[146:147], s[20:21]
	v_mul_f64 v[34:35], v[144:145], s[20:21]
	v_fma_f64 v[40:41], v[190:191], s[14:15], v[46:47]
	v_fma_f64 v[132:133], v[132:133], s[18:19], v[58:59]
	v_mul_f64 v[46:47], v[134:135], s[16:17]
	v_add_f64 v[16:17], v[198:199], v[16:17]
	v_fma_f64 v[50:51], v[126:127], s[22:23], v[154:155]
	v_fma_f64 v[58:59], v[156:157], s[18:19], v[184:185]
	;; [unrolled: 1-line block ×7, first 2 shown]
	v_add_u32_e32 v154, 0x400, v153
	ds_write2_b64 v154, v[26:27], v[42:43] offset0:112 offset1:142
	v_add_f64 v[26:27], v[200:201], v[16:17]
	v_add_f64 v[42:43], v[202:203], v[50:51]
	v_add_f64 v[155:156], v[58:59], v[24:25]
	v_add_f64 v[180:181], v[6:7], v[34:35]
	v_add_f64 v[16:17], v[200:201], -v[16:17]
	v_add_f64 v[182:183], v[40:41], v[46:47]
	v_add_f64 v[50:51], v[202:203], -v[50:51]
	v_add_f64 v[24:25], v[58:59], -v[24:25]
	v_lshlrev_b32_sdwa v58, v148, v150 dst_sel:DWORD dst_unused:UNUSED_PAD src0_sel:DWORD src1_sel:BYTE_0
	v_mul_u32_u24_e32 v59, 0x960, v149
	v_add3_u32 v148, 0, v59, v58
	ds_write2_b64 v148, v[26:27], v[42:43] offset1:30
	v_add_f64 v[26:27], v[84:85], v[96:97]
	ds_write2_b64 v148, v[155:156], v[180:181] offset0:60 offset1:90
	ds_write2_b64 v148, v[182:183], v[16:17] offset0:120 offset1:150
	;; [unrolled: 1-line block ×3, first 2 shown]
	v_add_f64 v[24:25], v[78:79], v[88:89]
	v_add_f64 v[58:59], v[28:29], v[20:21]
	v_add_f64 v[155:156], v[36:37], -v[12:13]
	v_add_f64 v[180:181], v[74:75], -v[78:79]
	;; [unrolled: 1-line block ×3, first 2 shown]
	v_add_f64 v[186:187], v[44:45], v[36:37]
	v_fma_f64 v[26:27], v[26:27], -0.5, v[0:1]
	v_add_f64 v[188:189], v[70:71], -v[82:83]
	v_fma_f64 v[24:25], v[24:25], -0.5, v[68:69]
	v_add_f64 v[6:7], v[6:7], -v[34:35]
	v_add_f64 v[16:17], v[40:41], -v[46:47]
	v_add_f64 v[34:35], v[72:73], v[98:99]
	v_add_f64 v[42:43], v[72:73], -v[84:85]
	v_add_f64 v[46:47], v[98:99], -v[96:97]
	v_fma_f64 v[58:59], v[58:59], -0.5, v[44:45]
	v_add_f64 v[190:191], v[74:75], -v[66:67]
	v_fma_f64 v[192:193], v[155:156], s[8:9], v[24:25]
	v_add_f64 v[194:195], v[28:29], -v[20:21]
	v_add_f64 v[180:181], v[180:181], v[182:183]
	v_add_f64 v[182:183], v[186:187], v[28:29]
	v_fma_f64 v[186:187], v[188:189], s[20:21], v[26:27]
	v_add_f64 v[196:197], v[76:77], -v[80:81]
	v_add_f64 v[40:41], v[0:1], v[72:73]
	v_add_f64 v[50:51], v[36:37], -v[28:29]
	v_add_f64 v[184:185], v[12:13], -v[20:21]
	v_fma_f64 v[198:199], v[190:191], s[20:21], v[58:59]
	v_add_f64 v[200:201], v[78:79], -v[88:89]
	v_fma_f64 v[192:193], v[194:195], s[14:15], v[192:193]
	v_fma_f64 v[0:1], v[34:35], -0.5, v[0:1]
	v_add_f64 v[34:35], v[42:43], v[46:47]
	v_fma_f64 v[46:47], v[196:197], s[16:17], v[186:187]
	v_add_f64 v[186:187], v[74:75], v[66:67]
	v_add_f64 v[42:43], v[50:51], v[184:185]
	;; [unrolled: 1-line block ×3, first 2 shown]
	v_fma_f64 v[182:183], v[200:201], s[16:17], v[198:199]
	v_fma_f64 v[184:185], v[180:181], s[18:19], v[192:193]
	v_add_f64 v[192:193], v[84:85], -v[72:73]
	v_add_f64 v[198:199], v[96:97], -v[98:99]
	v_add_f64 v[202:203], v[36:37], v[12:13]
	v_fma_f64 v[186:187], v[186:187], -0.5, v[68:69]
	v_add_f64 v[28:29], v[28:29], -v[36:37]
	v_add_f64 v[50:51], v[50:51], v[12:13]
	v_add_f64 v[12:13], v[20:21], -v[12:13]
	v_add_f64 v[20:21], v[78:79], -v[74:75]
	;; [unrolled: 1-line block ×3, first 2 shown]
	v_add_f64 v[192:193], v[192:193], v[198:199]
	v_fma_f64 v[44:45], v[202:203], -0.5, v[44:45]
	v_fma_f64 v[198:199], v[194:195], s[20:21], v[186:187]
	v_fma_f64 v[186:187], v[194:195], s[8:9], v[186:187]
	;; [unrolled: 1-line block ×3, first 2 shown]
	v_add_f64 v[12:13], v[28:29], v[12:13]
	v_fma_f64 v[28:29], v[190:191], s[8:9], v[58:59]
	v_add_f64 v[20:21], v[20:21], v[36:37]
	v_add_f64 v[40:41], v[40:41], v[84:85]
	v_fma_f64 v[206:207], v[200:201], s[8:9], v[44:45]
	v_fma_f64 v[44:45], v[200:201], s[20:21], v[44:45]
	;; [unrolled: 1-line block ×7, first 2 shown]
	v_add_f64 v[40:41], v[40:41], v[96:97]
	v_fma_f64 v[58:59], v[190:191], s[16:17], v[206:207]
	v_fma_f64 v[44:45], v[190:191], s[14:15], v[44:45]
	;; [unrolled: 1-line block ×8, first 2 shown]
	v_mul_f64 v[204:205], v[184:185], s[16:17]
	v_fma_f64 v[0:1], v[188:189], s[14:15], v[0:1]
	v_fma_f64 v[194:195], v[12:13], s[18:19], v[44:45]
	v_mul_f64 v[24:25], v[155:156], s[20:21]
	v_fma_f64 v[20:21], v[196:197], s[14:15], v[20:21]
	v_fma_f64 v[196:197], v[42:43], s[18:19], v[26:27]
	;; [unrolled: 3-line block ×3, first 2 shown]
	v_mul_f64 v[12:13], v[190:191], s[20:21]
	v_add_u32_e32 v149, 0x400, v148
	v_add_f64 v[40:41], v[40:41], v[98:99]
	v_fma_f64 v[46:47], v[34:35], s[18:19], v[46:47]
	v_fma_f64 v[28:29], v[182:183], s[22:23], v[204:205]
	;; [unrolled: 1-line block ×4, first 2 shown]
	ds_write2_b64 v149, v[6:7], v[16:17] offset0:112 offset1:142
	v_fma_f64 v[6:7], v[34:35], s[18:19], v[20:21]
	v_fma_f64 v[16:17], v[196:197], s[26:27], v[26:27]
	;; [unrolled: 1-line block ×4, first 2 shown]
	v_add_f64 v[20:21], v[40:41], v[50:51]
	v_add_f64 v[26:27], v[46:47], v[28:29]
	;; [unrolled: 1-line block ×3, first 2 shown]
	v_add_f64 v[40:41], v[40:41], -v[50:51]
	v_add_f64 v[0:1], v[0:1], -v[24:25]
	v_add_f64 v[50:51], v[6:7], v[16:17]
	v_add_f64 v[6:7], v[6:7], -v[16:17]
	v_add_f64 v[34:35], v[36:37], v[12:13]
	v_mul_u32_u24_e32 v58, 0x960, v152
	v_lshlrev_b32_e32 v59, 3, v151
	v_add3_u32 v152, 0, v58, v59
	v_add_f64 v[44:45], v[120:121], v[122:123]
	v_add_u32_e32 v157, 0x400, v152
	v_add_f64 v[10:11], v[10:11], v[38:39]
	ds_write2_b64 v152, v[20:21], v[26:27] offset1:30
	ds_write2_b64 v152, v[34:35], v[42:43] offset0:60 offset1:90
	ds_write2_b64 v157, v[0:1], v[6:7] offset0:112 offset1:142
	v_add_f64 v[0:1], v[118:119], v[48:49]
	v_add_f64 v[124:125], v[124:125], -v[54:55]
	v_add_f64 v[20:21], v[60:61], v[118:119]
	v_fma_f64 v[150:151], v[44:45], -0.5, v[60:61]
	v_add_f64 v[26:27], v[46:47], -v[28:29]
	v_add_f64 v[10:11], v[10:11], v[30:31]
	v_add_f64 v[186:187], v[56:57], -v[52:53]
	v_add_f64 v[12:13], v[36:37], -v[12:13]
	v_fma_f64 v[0:1], v[0:1], -0.5, v[60:61]
	v_add_f64 v[28:29], v[118:119], -v[120:121]
	v_add_f64 v[30:31], v[48:49], -v[122:123]
	v_add_f64 v[20:21], v[20:21], v[120:121]
	v_fma_f64 v[34:35], v[124:125], s[8:9], v[150:151]
	v_add_f64 v[10:11], v[10:11], v[22:23]
	v_add_f64 v[6:7], v[120:121], -v[118:119]
	ds_write2_b64 v152, v[26:27], v[12:13] offset0:180 offset1:210
	v_add_f64 v[22:23], v[122:123], -v[48:49]
	v_fma_f64 v[24:25], v[186:187], s[20:21], v[0:1]
	v_fma_f64 v[26:27], v[186:187], s[8:9], v[0:1]
	v_add_f64 v[192:193], v[28:29], v[30:31]
	v_mul_f64 v[2:3], v[2:3], s[22:23]
	v_add_f64 v[16:17], v[20:21], v[122:123]
	v_fma_f64 v[20:21], v[186:187], s[14:15], v[34:35]
	v_mul_f64 v[118:119], v[138:139], s[18:19]
	v_add_f64 v[22:23], v[6:7], v[22:23]
	v_fma_f64 v[24:25], v[124:125], s[14:15], v[24:25]
	v_fma_f64 v[30:31], v[124:125], s[16:17], v[26:27]
	v_mul_f64 v[120:121], v[4:5], s[24:25]
	v_add_f64 v[198:199], v[10:11], v[18:19]
	v_fma_f64 v[200:201], v[14:15], s[14:15], v[2:3]
	v_add_f64 v[202:203], v[16:17], v[48:49]
	v_fma_f64 v[204:205], v[192:193], s[18:19], v[20:21]
	v_fma_f64 v[122:123], v[124:125], s[20:21], v[150:151]
	;; [unrolled: 1-line block ×6, first 2 shown]
	v_mul_f64 v[130:131], v[130:131], s[26:27]
	v_add_f64 v[136:137], v[202:203], v[198:199]
	v_add_f64 v[150:151], v[204:205], v[200:201]
	v_fma_f64 v[122:123], v[186:187], s[16:17], v[122:123]
	ds_write2_b64 v152, v[50:51], v[40:41] offset0:120 offset1:150
	s_waitcnt lgkmcnt(0)
	v_add_f64 v[186:187], v[124:125], v[118:119]
	v_add_f64 v[206:207], v[138:139], v[120:121]
	v_fma_f64 v[128:129], v[128:129], s[14:15], v[130:131]
	v_add_f64 v[130:131], v[90:91], v[94:95]
	s_barrier
	ds_read2_b64 v[18:21], v165 offset1:90
	ds_read2_b64 v[58:61], v167 offset0:132 offset1:222
	ds_read2_b64 v[54:57], v166 offset0:8 offset1:98
	;; [unrolled: 1-line block ×14, first 2 shown]
	s_waitcnt lgkmcnt(0)
	s_barrier
	ds_write2_b64 v153, v[136:137], v[150:151] offset1:30
	ds_write2_b64 v153, v[186:187], v[206:207] offset0:60 offset1:90
	v_add_f64 v[136:137], v[86:87], v[92:93]
	v_add_f64 v[112:113], v[112:113], v[114:115]
	v_fma_f64 v[130:131], v[130:131], -0.5, v[62:63]
	v_add_f64 v[186:187], v[62:63], v[86:87]
	v_add_f64 v[102:103], v[102:103], -v[110:111]
	v_add_f64 v[104:105], v[104:105], -v[108:109]
	v_fma_f64 v[122:123], v[192:193], s[18:19], v[122:123]
	v_mul_f64 v[64:65], v[64:65], s[22:23]
	v_fma_f64 v[62:63], v[136:137], -0.5, v[62:63]
	v_add_f64 v[108:109], v[112:113], v[116:117]
	v_add_f64 v[112:113], v[86:87], -v[90:91]
	v_add_f64 v[116:117], v[92:93], -v[94:95]
	v_add_f64 v[136:137], v[186:187], v[90:91]
	v_fma_f64 v[186:187], v[102:103], s[8:9], v[130:131]
	v_add_f64 v[86:87], v[90:91], -v[86:87]
	v_add_f64 v[90:91], v[94:95], -v[92:93]
	v_fma_f64 v[192:193], v[104:105], s[20:21], v[62:63]
	v_fma_f64 v[62:63], v[104:105], s[8:9], v[62:63]
	v_add_f64 v[100:101], v[108:109], v[100:101]
	v_add_f64 v[108:109], v[112:113], v[116:117]
	;; [unrolled: 1-line block ×3, first 2 shown]
	v_fma_f64 v[112:113], v[104:105], s[14:15], v[186:187]
	v_mul_f64 v[116:117], v[146:147], s[18:19]
	v_add_f64 v[86:87], v[86:87], v[90:91]
	v_fma_f64 v[90:91], v[102:103], s[14:15], v[192:193]
	v_fma_f64 v[62:63], v[102:103], s[16:17], v[62:63]
	v_add_f64 v[100:101], v[100:101], v[106:107]
	v_fma_f64 v[64:65], v[126:127], s[14:15], v[64:65]
	v_add_f64 v[92:93], v[94:95], v[92:93]
	v_fma_f64 v[94:95], v[108:109], s[18:19], v[112:113]
	v_add_f64 v[150:151], v[202:203], -v[198:199]
	v_add_f64 v[114:115], v[122:123], v[128:129]
	v_fma_f64 v[102:103], v[102:103], s[20:21], v[130:131]
	v_add_f64 v[110:111], v[204:205], -v[200:201]
	v_add_f64 v[112:113], v[124:125], -v[118:119]
	v_fma_f64 v[90:91], v[86:87], s[18:19], v[90:91]
	v_fma_f64 v[62:63], v[86:87], s[18:19], v[62:63]
	;; [unrolled: 1-line block ×3, first 2 shown]
	v_add_f64 v[116:117], v[138:139], -v[120:121]
	v_add_f64 v[118:119], v[122:123], -v[128:129]
	v_add_f64 v[120:121], v[92:93], v[100:101]
	v_add_f64 v[122:123], v[94:95], v[64:65]
	v_fma_f64 v[102:103], v[104:105], s[16:17], v[102:103]
	ds_write2_b64 v153, v[114:115], v[150:151] offset0:120 offset1:150
	ds_write2_b64 v153, v[110:111], v[112:113] offset0:180 offset1:210
	;; [unrolled: 1-line block ×3, first 2 shown]
	ds_write2_b64 v148, v[120:121], v[122:123] offset1:30
	v_add_f64 v[110:111], v[76:77], v[80:81]
	v_add_f64 v[124:125], v[90:91], v[86:87]
	v_add_f64 v[64:65], v[94:95], -v[64:65]
	v_fma_f64 v[102:103], v[108:109], s[18:19], v[102:103]
	v_add_f64 v[108:109], v[70:71], v[82:83]
	v_add_f64 v[86:87], v[90:91], -v[86:87]
	v_add_f64 v[94:95], v[8:9], v[70:71]
	v_add_f64 v[72:73], v[72:73], -v[98:99]
	v_fma_f64 v[90:91], v[110:111], -0.5, v[8:9]
	v_add_f64 v[68:69], v[68:69], v[74:75]
	v_add_f64 v[84:85], v[84:85], -v[96:97]
	v_add_f64 v[96:97], v[70:71], -v[76:77]
	v_fma_f64 v[8:9], v[108:109], -0.5, v[8:9]
	v_add_f64 v[98:99], v[82:83], -v[80:81]
	v_add_f64 v[74:75], v[94:95], v[76:77]
	v_add_f64 v[92:93], v[92:93], -v[100:101]
	v_fma_f64 v[94:95], v[72:73], s[8:9], v[90:91]
	v_fma_f64 v[90:91], v[72:73], s[20:21], v[90:91]
	v_add_f64 v[68:69], v[68:69], v[78:79]
	v_add_f64 v[70:71], v[76:77], -v[70:71]
	v_add_f64 v[76:77], v[80:81], -v[82:83]
	v_fma_f64 v[100:101], v[84:85], s[20:21], v[8:9]
	v_fma_f64 v[8:9], v[84:85], s[8:9], v[8:9]
	v_add_f64 v[78:79], v[96:97], v[98:99]
	v_fma_f64 v[94:95], v[84:85], s[14:15], v[94:95]
	v_add_f64 v[74:75], v[74:75], v[80:81]
	v_mul_f64 v[136:137], v[144:145], s[24:25]
	v_mul_f64 v[104:105], v[134:135], s[26:27]
	v_fma_f64 v[84:85], v[84:85], s[16:17], v[90:91]
	v_add_f64 v[68:69], v[68:69], v[88:89]
	v_mul_f64 v[88:89], v[184:185], s[22:23]
	v_add_f64 v[70:71], v[70:71], v[76:77]
	v_fma_f64 v[76:77], v[72:73], s[14:15], v[100:101]
	v_fma_f64 v[8:9], v[72:73], s[16:17], v[8:9]
	v_add_f64 v[74:75], v[74:75], v[82:83]
	v_mul_f64 v[82:83], v[190:191], s[18:19]
	v_fma_f64 v[90:91], v[78:79], s[18:19], v[94:95]
	v_mul_f64 v[94:95], v[155:156], s[24:25]
	v_mul_f64 v[96:97], v[180:181], s[26:27]
	v_fma_f64 v[106:107], v[142:143], s[8:9], v[136:137]
	v_fma_f64 v[104:105], v[132:133], s[14:15], v[104:105]
	v_add_f64 v[66:67], v[68:69], v[66:67]
	v_fma_f64 v[68:69], v[78:79], s[18:19], v[84:85]
	v_fma_f64 v[78:79], v[182:183], s[14:15], v[88:89]
	;; [unrolled: 1-line block ×7, first 2 shown]
	v_add_f64 v[126:127], v[62:63], v[106:107]
	v_add_f64 v[72:73], v[102:103], v[104:105]
	v_add_f64 v[62:63], v[62:63], -v[106:107]
	v_add_f64 v[80:81], v[102:103], -v[104:105]
	v_add_f64 v[88:89], v[74:75], v[66:67]
	v_add_f64 v[66:67], v[74:75], -v[66:67]
	v_add_f64 v[74:75], v[90:91], v[78:79]
	;; [unrolled: 2-line block ×5, first 2 shown]
	v_add_f64 v[68:69], v[68:69], -v[84:85]
	v_lshlrev_b32_e32 v84, 1, v164
	v_mov_b32_e32 v85, 0
	ds_write2_b64 v148, v[124:125], v[126:127] offset0:60 offset1:90
	ds_write2_b64 v148, v[72:73], v[92:93] offset0:120 offset1:150
	;; [unrolled: 1-line block ×4, first 2 shown]
	ds_write2_b64 v152, v[88:89], v[74:75] offset1:30
	ds_write2_b64 v152, v[90:91], v[82:83] offset0:60 offset1:90
	ds_write2_b64 v152, v[70:71], v[66:67] offset0:120 offset1:150
	;; [unrolled: 1-line block ×4, first 2 shown]
	v_lshlrev_b64 v[8:9], 4, v[84:85]
	v_mov_b32_e32 v83, s13
	v_add_co_u32_e32 v88, vcc, s12, v8
	s_movk_i32 s8, 0x1000
	v_addc_co_u32_e32 v89, vcc, v83, v9, vcc
	v_add_co_u32_e32 v8, vcc, s8, v88
	v_addc_co_u32_e32 v9, vcc, 0, v89, vcc
	s_waitcnt lgkmcnt(0)
	s_barrier
	global_load_dwordx4 v[62:65], v[8:9], off offset:656
	v_lshlrev_b32_e32 v8, 1, v158
	v_mov_b32_e32 v9, v85
	v_lshlrev_b64 v[8:9], 4, v[8:9]
	s_movk_i32 s9, 0x1290
	v_add_co_u32_e32 v90, vcc, s12, v8
	v_addc_co_u32_e32 v91, vcc, v83, v9, vcc
	v_add_co_u32_e32 v8, vcc, s8, v90
	v_addc_co_u32_e32 v9, vcc, 0, v91, vcc
	global_load_dwordx4 v[71:74], v[8:9], off offset:656
	v_add_co_u32_e32 v8, vcc, s9, v88
	v_addc_co_u32_e32 v9, vcc, 0, v89, vcc
	global_load_dwordx4 v[75:78], v[8:9], off offset:16
	;; [unrolled: 3-line block ×3, first 2 shown]
	v_lshlrev_b32_e32 v8, 1, v159
	v_mov_b32_e32 v9, v85
	v_lshlrev_b64 v[8:9], 4, v[8:9]
	ds_read2_b64 v[95:98], v167 offset0:132 offset1:222
	v_add_co_u32_e32 v92, vcc, s12, v8
	v_addc_co_u32_e32 v93, vcc, v83, v9, vcc
	v_add_co_u32_e32 v66, vcc, s8, v92
	v_addc_co_u32_e32 v67, vcc, 0, v93, vcc
	v_add_u32_e32 v94, 0x10e, v164
	v_subrev_u32_e32 v8, 30, v164
	v_cmp_gt_u32_e32 vcc, 30, v164
	v_cndmask_b32_e32 v8, v8, v94, vcc
	v_add_u32_e32 v195, 0x1c00, v165
	s_waitcnt vmcnt(3) lgkmcnt(0)
	v_mul_f64 v[86:87], v[95:96], v[64:65]
	v_mul_f64 v[188:189], v[58:59], v[64:65]
	v_lshlrev_b32_e32 v64, 1, v8
	v_mov_b32_e32 v65, v85
	v_lshlrev_b64 v[64:65], 4, v[64:65]
	v_lshlrev_b32_e32 v8, 3, v8
	v_add_co_u32_e32 v9, vcc, s12, v64
	v_addc_co_u32_e32 v70, vcc, v83, v65, vcc
	v_add_co_u32_e32 v64, vcc, s8, v9
	v_addc_co_u32_e32 v65, vcc, 0, v70, vcc
	;; [unrolled: 2-line block ×3, first 2 shown]
	global_load_dwordx4 v[99:102], v[66:67], off offset:656
	global_load_dwordx4 v[103:106], v[68:69], off offset:16
	v_add_co_u32_e32 v66, vcc, s9, v9
	v_addc_co_u32_e32 v67, vcc, 0, v70, vcc
	global_load_dwordx4 v[107:110], v[64:65], off offset:656
	global_load_dwordx4 v[111:114], v[66:67], off offset:16
	v_add_u32_e32 v64, 0x78, v84
	v_mov_b32_e32 v65, v85
	v_lshlrev_b64 v[64:65], 4, v[64:65]
	v_add_u32_e32 v66, 0x12c, v84
	v_add_co_u32_e32 v9, vcc, s12, v64
	v_addc_co_u32_e32 v69, vcc, v83, v65, vcc
	v_mov_b32_e32 v67, v85
	v_add_co_u32_e32 v64, vcc, s8, v9
	v_lshlrev_b64 v[66:67], 4, v[66:67]
	v_addc_co_u32_e32 v65, vcc, 0, v69, vcc
	v_add_co_u32_e32 v70, vcc, s12, v66
	v_addc_co_u32_e32 v123, vcc, v83, v67, vcc
	v_add_co_u32_e32 v66, vcc, s8, v70
	v_addc_co_u32_e32 v67, vcc, 0, v123, vcc
	v_add_co_u32_e32 v68, vcc, s9, v9
	v_addc_co_u32_e32 v69, vcc, 0, v69, vcc
	global_load_dwordx4 v[115:118], v[64:65], off offset:656
	global_load_dwordx4 v[119:122], v[68:69], off offset:16
	v_add_co_u32_e32 v64, vcc, s9, v70
	v_addc_co_u32_e32 v65, vcc, 0, v123, vcc
	global_load_dwordx4 v[123:126], v[66:67], off offset:656
	global_load_dwordx4 v[127:130], v[64:65], off offset:16
	v_add_u32_e32 v64, 0x21c, v164
	v_lshrrev_b16_e32 v9, 2, v64
	v_mul_u32_u24_e32 v9, 0x6d3b, v9
	v_lshrrev_b32_e32 v68, 21, v9
	v_mul_lo_u16_e32 v9, 0x12c, v68
	v_sub_u16_e32 v9, v64, v9
	v_lshlrev_b32_e32 v65, 5, v9
	v_add_co_u32_e32 v70, vcc, s12, v65
	v_add_u32_e32 v65, 0x276, v164
	v_lshrrev_b16_e32 v69, 2, v65
	v_mul_u32_u24_e32 v69, 0x6d3b, v69
	v_lshrrev_b32_e32 v69, 21, v69
	v_addc_co_u32_e32 v131, vcc, 0, v83, vcc
	v_mul_lo_u16_e32 v69, 0x12c, v69
	v_add_co_u32_e32 v66, vcc, s8, v70
	v_sub_u16_e32 v69, v65, v69
	v_addc_co_u32_e32 v67, vcc, 0, v131, vcc
	v_lshlrev_b32_e32 v132, 5, v69
	v_add_co_u32_e32 v141, vcc, s12, v132
	v_addc_co_u32_e32 v142, vcc, 0, v83, vcc
	v_add_co_u32_e32 v139, vcc, s8, v141
	v_addc_co_u32_e32 v140, vcc, 0, v142, vcc
	v_add_co_u32_e32 v135, vcc, s9, v70
	v_addc_co_u32_e32 v136, vcc, 0, v131, vcc
	global_load_dwordx4 v[131:134], v[66:67], off offset:656
	s_nop 0
	global_load_dwordx4 v[135:138], v[135:136], off offset:16
	v_add_co_u32_e32 v66, vcc, s9, v141
	v_addc_co_u32_e32 v67, vcc, 0, v142, vcc
	global_load_dwordx4 v[139:142], v[139:140], off offset:656
	s_nop 0
	global_load_dwordx4 v[143:146], v[66:67], off offset:16
	v_add_u32_e32 v66, 0x2d0, v164
	v_lshrrev_b16_e32 v67, 2, v66
	v_mul_u32_u24_e32 v67, 0x6d3b, v67
	v_lshrrev_b32_e32 v67, 21, v67
	v_mul_lo_u16_e32 v67, 0x12c, v67
	v_sub_u16_e32 v70, v66, v67
	v_lshlrev_b32_e32 v67, 5, v70
	v_add_co_u32_e32 v159, vcc, s12, v67
	v_add_u32_e32 v67, 0x32a, v164
	v_lshrrev_b16_e32 v151, 2, v67
	v_mul_u32_u24_e32 v151, 0x6d3b, v151
	v_lshrrev_b32_e32 v151, 21, v151
	v_addc_co_u32_e32 v181, vcc, 0, v83, vcc
	v_mul_lo_u16_e32 v151, 0x12c, v151
	v_add_co_u32_e32 v147, vcc, s8, v159
	v_sub_u16_e32 v194, v67, v151
	v_addc_co_u32_e32 v148, vcc, 0, v181, vcc
	v_lshlrev_b32_e32 v151, 5, v194
	v_add_co_u32_e32 v184, vcc, s12, v151
	v_addc_co_u32_e32 v83, vcc, 0, v83, vcc
	v_add_co_u32_e32 v151, vcc, s8, v184
	v_addc_co_u32_e32 v152, vcc, 0, v83, vcc
	global_load_dwordx4 v[147:150], v[147:148], off offset:656
	v_add_co_u32_e32 v180, vcc, s9, v159
	global_load_dwordx4 v[151:154], v[151:152], off offset:656
	v_addc_co_u32_e32 v181, vcc, 0, v181, vcc
	v_add_co_u32_e32 v184, vcc, s9, v184
	v_addc_co_u32_e32 v185, vcc, 0, v83, vcc
	global_load_dwordx4 v[180:183], v[180:181], off offset:16
	ds_read2_b64 v[155:158], v166 offset0:8 offset1:98
	global_load_dwordx4 v[184:187], v[184:185], off offset:16
	s_waitcnt vmcnt(18)
	v_mul_f64 v[190:191], v[97:98], v[73:74]
	v_mul_f64 v[73:74], v[60:61], v[73:74]
	v_fma_f64 v[86:87], v[58:59], v[62:63], v[86:87]
	s_waitcnt vmcnt(17) lgkmcnt(0)
	v_mul_f64 v[192:193], v[155:156], v[77:78]
	v_fma_f64 v[95:96], v[95:96], v[62:63], -v[188:189]
	v_mul_f64 v[62:63], v[54:55], v[77:78]
	s_waitcnt vmcnt(16)
	v_mul_f64 v[77:78], v[56:57], v[81:82]
	v_cmp_lt_u32_e32 vcc, 29, v164
	v_fma_f64 v[188:189], v[60:61], v[71:72], v[190:191]
	ds_read2_b64 v[58:61], v169 offset0:56 offset1:146
	v_fma_f64 v[97:98], v[97:98], v[71:72], -v[73:74]
	v_fma_f64 v[190:191], v[54:55], v[75:76], v[192:193]
	v_mul_f64 v[54:55], v[157:158], v[81:82]
	ds_read2_b64 v[71:74], v170 offset0:60 offset1:150
	s_waitcnt vmcnt(15) lgkmcnt(1)
	v_mul_f64 v[81:82], v[58:59], v[101:102]
	v_mul_f64 v[101:102], v[50:51], v[101:102]
	s_waitcnt vmcnt(13)
	v_mul_f64 v[192:193], v[60:61], v[109:110]
	v_mul_f64 v[109:110], v[52:53], v[109:110]
	v_fma_f64 v[75:76], v[155:156], v[75:76], -v[62:63]
	v_fma_f64 v[77:78], v[157:158], v[79:80], -v[77:78]
	v_fma_f64 v[155:156], v[56:57], v[79:80], v[54:55]
	s_waitcnt lgkmcnt(0)
	v_mul_f64 v[54:55], v[71:72], v[105:106]
	v_fma_f64 v[157:158], v[50:51], v[99:100], v[81:82]
	v_fma_f64 v[58:59], v[58:59], v[99:100], -v[101:102]
	v_fma_f64 v[99:100], v[52:53], v[107:108], v[192:193]
	ds_read2_b64 v[50:53], v172 offset0:108 offset1:198
	v_fma_f64 v[79:80], v[60:61], v[107:108], -v[109:110]
	v_mul_f64 v[60:61], v[46:47], v[105:106]
	s_waitcnt vmcnt(11)
	v_mul_f64 v[105:106], v[42:43], v[117:118]
	v_fma_f64 v[101:102], v[46:47], v[103:104], v[54:55]
	s_waitcnt lgkmcnt(0)
	v_mul_f64 v[81:82], v[50:51], v[117:118]
	ds_read2_b64 v[54:57], v173 offset0:112 offset1:202
	s_waitcnt vmcnt(9)
	v_mul_f64 v[107:108], v[52:53], v[125:126]
	v_mul_f64 v[46:47], v[73:74], v[113:114]
	;; [unrolled: 1-line block ×3, first 2 shown]
	v_fma_f64 v[103:104], v[71:72], v[103:104], -v[60:61]
	s_waitcnt lgkmcnt(0)
	v_mul_f64 v[60:61], v[54:55], v[121:122]
	v_mul_f64 v[109:110], v[44:45], v[125:126]
	v_fma_f64 v[117:118], v[42:43], v[115:116], v[81:82]
	v_fma_f64 v[105:106], v[50:51], v[115:116], -v[105:106]
	v_fma_f64 v[107:108], v[44:45], v[123:124], v[107:108]
	ds_read2_b64 v[42:45], v176 offset0:160 offset1:250
	v_fma_f64 v[113:114], v[48:49], v[111:112], v[46:47]
	v_fma_f64 v[111:112], v[73:74], v[111:112], -v[62:63]
	v_fma_f64 v[115:116], v[34:35], v[119:120], v[60:61]
	v_fma_f64 v[109:110], v[52:53], v[123:124], -v[109:110]
	s_waitcnt vmcnt(7) lgkmcnt(0)
	v_mul_f64 v[60:61], v[42:43], v[133:134]
	v_mul_f64 v[34:35], v[34:35], v[121:122]
	v_mul_f64 v[50:51], v[56:57], v[129:130]
	v_mul_f64 v[52:53], v[36:37], v[129:130]
	v_mul_f64 v[62:63], v[38:39], v[133:134]
	ds_read2_b64 v[46:49], v175 offset0:36 offset1:126
	s_waitcnt vmcnt(5)
	v_mul_f64 v[71:72], v[44:45], v[141:142]
	v_mul_f64 v[73:74], v[40:41], v[141:142]
	v_fma_f64 v[125:126], v[38:39], v[131:132], v[60:61]
	v_fma_f64 v[119:120], v[54:55], v[119:120], -v[34:35]
	s_waitcnt lgkmcnt(0)
	v_mul_f64 v[38:39], v[46:47], v[137:138]
	v_fma_f64 v[121:122], v[36:37], v[127:128], v[50:51]
	v_fma_f64 v[123:124], v[56:57], v[127:128], -v[52:53]
	v_fma_f64 v[127:128], v[42:43], v[131:132], -v[62:63]
	ds_read2_b64 v[34:37], v178 offset0:84 offset1:174
	s_waitcnt vmcnt(4)
	v_mul_f64 v[42:43], v[48:49], v[145:146]
	v_fma_f64 v[129:130], v[40:41], v[139:140], v[71:72]
	v_fma_f64 v[131:132], v[44:45], v[139:140], -v[73:74]
	v_mul_f64 v[40:41], v[26:27], v[137:138]
	v_mul_f64 v[44:45], v[28:29], v[145:146]
	v_fma_f64 v[133:134], v[26:27], v[135:136], v[38:39]
	s_waitcnt vmcnt(3) lgkmcnt(0)
	v_mul_f64 v[38:39], v[34:35], v[149:150]
	v_mul_f64 v[50:51], v[30:31], v[149:150]
	v_fma_f64 v[137:138], v[28:29], v[143:144], v[42:43]
	s_waitcnt vmcnt(2)
	v_mul_f64 v[52:53], v[36:37], v[153:154]
	v_mul_f64 v[54:55], v[32:33], v[153:154]
	ds_read2_b64 v[26:29], v179 offset0:88 offset1:178
	v_fma_f64 v[135:136], v[46:47], v[135:136], -v[40:41]
	v_fma_f64 v[139:140], v[48:49], v[143:144], -v[44:45]
	v_fma_f64 v[30:31], v[30:31], v[147:148], v[38:39]
	v_add_f64 v[40:41], v[86:87], v[190:191]
	v_add_f64 v[44:45], v[18:19], v[86:87]
	v_fma_f64 v[143:144], v[32:33], v[151:152], v[52:53]
	v_fma_f64 v[145:146], v[36:37], v[151:152], -v[54:55]
	s_waitcnt vmcnt(1) lgkmcnt(0)
	v_mul_f64 v[32:33], v[26:27], v[182:183]
	s_waitcnt vmcnt(0)
	v_mul_f64 v[36:37], v[28:29], v[186:187]
	v_mul_f64 v[38:39], v[24:25], v[186:187]
	v_add_f64 v[46:47], v[20:21], v[188:189]
	v_fma_f64 v[141:142], v[34:35], v[147:148], -v[50:51]
	v_mul_f64 v[34:35], v[22:23], v[182:183]
	v_add_f64 v[42:43], v[188:189], v[155:156]
	v_lshl_add_u32 v197, v69, 3, 0
	v_fma_f64 v[147:148], v[22:23], v[180:181], v[32:33]
	v_fma_f64 v[151:152], v[24:25], v[184:185], v[36:37]
	v_fma_f64 v[153:154], v[28:29], v[184:185], -v[38:39]
	v_fma_f64 v[32:33], v[40:41], -0.5, v[18:19]
	v_add_f64 v[36:37], v[44:45], v[190:191]
	v_add_f64 v[38:39], v[46:47], v[155:156]
	;; [unrolled: 1-line block ×3, first 2 shown]
	v_fma_f64 v[149:150], v[26:27], v[180:181], -v[34:35]
	v_fma_f64 v[34:35], v[42:43], -0.5, v[20:21]
	ds_read2_b64 v[18:21], v165 offset1:90
	ds_read2_b64 v[22:25], v168 offset0:52 offset1:142
	ds_read2_b64 v[26:29], v171 offset0:104 offset1:194
	ds_read2_b64 v[48:51], v174 offset0:28 offset1:118
	ds_read2_b64 v[60:63], v177 offset0:80 offset1:170
	s_waitcnt lgkmcnt(0)
	s_barrier
	v_add_f64 v[42:43], v[95:96], -v[75:76]
	v_add_f64 v[44:45], v[97:98], -v[77:78]
	ds_write2_b64 v165, v[36:37], v[38:39] offset1:90
	v_add_f64 v[36:37], v[14:15], v[157:158]
	v_fma_f64 v[14:15], v[40:41], -0.5, v[14:15]
	v_add_f64 v[40:41], v[95:96], v[75:76]
	v_add_f64 v[38:39], v[58:59], -v[103:104]
	v_add_f64 v[46:47], v[97:98], v[77:78]
	v_fma_f64 v[52:53], v[42:43], s[4:5], v[32:33]
	v_fma_f64 v[54:55], v[44:45], s[4:5], v[34:35]
	;; [unrolled: 1-line block ×3, first 2 shown]
	v_add_f64 v[36:37], v[36:37], v[101:102]
	v_fma_f64 v[34:35], v[44:45], s[2:3], v[34:35]
	v_fma_f64 v[180:181], v[40:41], -0.5, v[18:19]
	v_add_f64 v[40:41], v[99:100], v[113:114]
	v_fma_f64 v[42:43], v[38:39], s[2:3], v[14:15]
	ds_write2_b64 v174, v[52:53], v[54:55] offset0:88 offset1:178
	ds_write2_b64 v168, v[36:37], v[32:33] offset0:52 offset1:172
	;; [unrolled: 1-line block ×3, first 2 shown]
	v_fma_f64 v[14:15], v[38:39], s[4:5], v[14:15]
	v_add_f64 v[32:33], v[58:59], v[103:104]
	v_add_f64 v[34:35], v[79:80], v[111:112]
	v_fma_f64 v[36:37], v[40:41], -0.5, v[16:17]
	v_add_f64 v[38:39], v[79:80], -v[111:112]
	v_add_f64 v[40:41], v[117:118], v[115:116]
	v_add_f64 v[42:43], v[107:108], v[121:122]
	v_fma_f64 v[182:183], v[46:47], -0.5, v[20:21]
	v_add_f64 v[18:19], v[18:19], v[95:96]
	v_add_f64 v[20:21], v[20:21], v[97:98]
	;; [unrolled: 1-line block ×4, first 2 shown]
	v_fma_f64 v[97:98], v[32:33], -0.5, v[22:23]
	v_fma_f64 v[184:185], v[34:35], -0.5, v[24:25]
	v_fma_f64 v[22:23], v[38:39], s[2:3], v[36:37]
	v_fma_f64 v[32:33], v[38:39], s[4:5], v[36:37]
	v_fma_f64 v[34:35], v[40:41], -0.5, v[10:11]
	v_fma_f64 v[36:37], v[42:43], -0.5, v[12:13]
	v_add_f64 v[10:11], v[10:11], v[117:118]
	v_add_f64 v[12:13], v[12:13], v[107:108]
	ds_write_b64 v165, v[14:15] offset:6240
	v_add_f64 v[14:15], v[16:17], v[113:114]
	v_mov_b32_e32 v16, 0x1c20
	v_cndmask_b32_e32 v16, 0, v16, vcc
	v_add3_u32 v159, 0, v16, v8
	v_add_f64 v[16:17], v[105:106], -v[119:120]
	v_add_f64 v[10:11], v[10:11], v[115:116]
	v_add_f64 v[12:13], v[12:13], v[121:122]
	v_add_f64 v[38:39], v[109:110], -v[123:124]
	ds_write_b64 v159, v[14:15]
	ds_write_b64 v159, v[22:23] offset:2400
	ds_write_b64 v159, v[32:33] offset:4800
	v_add_f64 v[14:15], v[125:126], v[133:134]
	v_add_f64 v[186:187], v[18:19], v[75:76]
	;; [unrolled: 1-line block ×3, first 2 shown]
	v_fma_f64 v[22:23], v[16:17], s[2:3], v[34:35]
	v_fma_f64 v[16:17], v[16:17], s[4:5], v[34:35]
	ds_write2_b64 v195, v[10:11], v[12:13] offset0:64 offset1:154
	v_add_f64 v[10:11], v[129:130], v[137:138]
	v_fma_f64 v[32:33], v[38:39], s[2:3], v[36:37]
	v_fma_f64 v[34:35], v[38:39], s[4:5], v[36:37]
	v_fma_f64 v[14:15], v[14:15], -0.5, v[0:1]
	v_add_f64 v[36:37], v[127:128], -v[135:136]
	v_add_f64 v[12:13], v[30:31], v[147:148]
	v_add_f64 v[0:1], v[0:1], v[125:126]
	;; [unrolled: 1-line block ×3, first 2 shown]
	v_fma_f64 v[10:11], v[10:11], -0.5, v[2:3]
	v_add_f64 v[2:3], v[2:3], v[129:130]
	ds_write2_b64 v178, v[16:17], v[34:35] offset0:24 offset1:114
	v_add_f64 v[20:21], v[131:132], -v[139:140]
	v_fma_f64 v[16:17], v[36:37], s[2:3], v[14:15]
	v_fma_f64 v[12:13], v[12:13], -0.5, v[4:5]
	v_fma_f64 v[14:15], v[36:37], s[4:5], v[14:15]
	v_fma_f64 v[18:19], v[18:19], -0.5, v[6:7]
	v_add_f64 v[4:5], v[4:5], v[30:31]
	v_add_f64 v[0:1], v[0:1], v[133:134]
	;; [unrolled: 1-line block ×3, first 2 shown]
	v_mul_u32_u24_e32 v8, 0x1c20, v68
	v_add_f64 v[2:3], v[2:3], v[137:138]
	v_add_f64 v[68:69], v[86:87], -v[190:191]
	ds_write2_b64 v172, v[22:23], v[32:33] offset0:108 offset1:198
	v_add_f64 v[22:23], v[141:142], -v[149:150]
	v_add_f64 v[32:33], v[145:146], -v[153:154]
	v_lshl_add_u32 v198, v70, 3, 0
	v_add_f64 v[70:71], v[188:189], -v[155:156]
	v_lshlrev_b32_e32 v9, 3, v9
	v_add_f64 v[86:87], v[157:158], -v[101:102]
	v_add3_u32 v196, 0, v8, v9
	v_fma_f64 v[34:35], v[20:21], s[2:3], v[10:11]
	ds_write_b64 v196, v[0:1]
	ds_write_b64 v196, v[16:17] offset:2400
	v_add_f64 v[0:1], v[4:5], v[147:148]
	ds_write_b64 v196, v[14:15] offset:4800
	ds_write_b64 v197, v[2:3] offset:14400
	v_add_f64 v[2:3], v[6:7], v[151:152]
	v_fma_f64 v[101:102], v[68:69], s[2:3], v[180:181]
	v_fma_f64 v[68:69], v[68:69], s[4:5], v[180:181]
	v_add_f64 v[95:96], v[95:96], v[103:104]
	v_fma_f64 v[10:11], v[20:21], s[4:5], v[10:11]
	v_fma_f64 v[20:21], v[22:23], s[2:3], v[12:13]
	;; [unrolled: 1-line block ×5, first 2 shown]
	v_add_f64 v[24:25], v[24:25], v[79:80]
	v_fma_f64 v[155:156], v[70:71], s[2:3], v[182:183]
	v_fma_f64 v[70:71], v[70:71], s[4:5], v[182:183]
	;; [unrolled: 1-line block ×3, first 2 shown]
	v_add_f64 v[99:100], v[99:100], -v[113:114]
	v_lshl_add_u32 v194, v194, 3, 0
	ds_write_b64 v197, v[34:35] offset:16800
	ds_write_b64 v197, v[10:11] offset:19200
	ds_write_b64 v198, v[0:1] offset:14400
	ds_write_b64 v198, v[20:21] offset:16800
	ds_write_b64 v198, v[12:13] offset:19200
	ds_write_b64 v194, v[2:3] offset:14400
	ds_write_b64 v194, v[22:23] offset:16800
	ds_write_b64 v194, v[18:19] offset:19200
	s_waitcnt lgkmcnt(0)
	s_barrier
	ds_read2_b64 v[0:3], v165 offset1:90
	ds_read2_b64 v[8:11], v167 offset0:132 offset1:222
	ds_read2_b64 v[12:15], v166 offset0:8 offset1:98
	;; [unrolled: 1-line block ×14, first 2 shown]
	s_waitcnt lgkmcnt(0)
	s_barrier
	ds_write2_b64 v168, v[95:96], v[68:69] offset0:52 offset1:172
	v_fma_f64 v[68:69], v[86:87], s[2:3], v[97:98]
	ds_write2_b64 v174, v[101:102], v[155:156] offset0:88 offset1:178
	v_add_f64 v[101:102], v[26:27], v[105:106]
	v_add_f64 v[113:114], v[28:29], v[109:110]
	;; [unrolled: 1-line block ×3, first 2 shown]
	ds_write2_b64 v171, v[70:71], v[103:104] offset0:134 offset1:224
	v_fma_f64 v[70:71], v[99:100], s[4:5], v[184:185]
	v_fma_f64 v[86:87], v[99:100], s[2:3], v[184:185]
	v_add_f64 v[99:100], v[105:106], v[119:120]
	ds_write_b64 v165, v[68:69] offset:6240
	v_add_f64 v[68:69], v[109:110], v[123:124]
	ds_write2_b64 v165, v[186:187], v[192:193] offset1:90
	v_add_f64 v[95:96], v[101:102], v[119:120]
	v_add_f64 v[97:98], v[113:114], v[123:124]
	ds_write_b64 v159, v[24:25]
	ds_write_b64 v159, v[70:71] offset:2400
	ds_write_b64 v159, v[86:87] offset:4800
	v_add_f64 v[24:25], v[127:128], v[135:136]
	v_add_f64 v[70:71], v[131:132], v[139:140]
	v_fma_f64 v[26:27], v[99:100], -0.5, v[26:27]
	v_fma_f64 v[28:29], v[68:69], -0.5, v[28:29]
	v_add_f64 v[68:69], v[117:118], -v[115:116]
	v_add_f64 v[86:87], v[107:108], -v[121:122]
	ds_write2_b64 v195, v[95:96], v[97:98] offset0:64 offset1:154
	v_add_f64 v[95:96], v[48:49], v[127:128]
	v_fma_f64 v[24:25], v[24:25], -0.5, v[48:49]
	v_add_f64 v[48:49], v[50:51], v[131:132]
	v_add_f64 v[97:98], v[141:142], v[149:150]
	v_fma_f64 v[50:51], v[70:71], -0.5, v[50:51]
	v_add_f64 v[70:71], v[145:146], v[153:154]
	v_fma_f64 v[99:100], v[68:69], s[4:5], v[26:27]
	v_fma_f64 v[101:102], v[86:87], s[4:5], v[28:29]
	;; [unrolled: 1-line block ×4, first 2 shown]
	v_add_f64 v[86:87], v[125:126], -v[133:134]
	v_add_f64 v[68:69], v[60:61], v[141:142]
	v_fma_f64 v[60:61], v[97:98], -0.5, v[60:61]
	v_add_f64 v[97:98], v[62:63], v[145:146]
	v_fma_f64 v[62:63], v[70:71], -0.5, v[62:63]
	v_add_f64 v[70:71], v[129:130], -v[137:138]
	v_add_f64 v[48:49], v[48:49], v[139:140]
	ds_write2_b64 v178, v[26:27], v[28:29] offset0:24 offset1:114
	v_add_f64 v[28:29], v[30:31], -v[147:148]
	v_add_f64 v[26:27], v[95:96], v[135:136]
	v_fma_f64 v[30:31], v[86:87], s[4:5], v[24:25]
	v_fma_f64 v[24:25], v[86:87], s[2:3], v[24:25]
	v_add_f64 v[86:87], v[143:144], -v[151:152]
	v_fma_f64 v[95:96], v[70:71], s[4:5], v[50:51]
	v_fma_f64 v[50:51], v[70:71], s[2:3], v[50:51]
	v_add_f64 v[68:69], v[68:69], v[149:150]
	v_fma_f64 v[70:71], v[28:29], s[4:5], v[60:61]
	s_movk_i32 s8, 0x3000
	ds_write2_b64 v172, v[99:100], v[101:102] offset0:108 offset1:198
	v_fma_f64 v[28:29], v[28:29], s[2:3], v[60:61]
	v_add_f64 v[60:61], v[97:98], v[153:154]
	v_fma_f64 v[97:98], v[86:87], s[4:5], v[62:63]
	v_fma_f64 v[62:63], v[86:87], s[2:3], v[62:63]
	ds_write_b64 v196, v[26:27]
	ds_write_b64 v196, v[30:31] offset:2400
	ds_write_b64 v196, v[24:25] offset:4800
	ds_write_b64 v197, v[48:49] offset:14400
	ds_write_b64 v197, v[95:96] offset:16800
	ds_write_b64 v197, v[50:51] offset:19200
	ds_write_b64 v198, v[68:69] offset:14400
	ds_write_b64 v198, v[70:71] offset:16800
	ds_write_b64 v198, v[28:29] offset:19200
	ds_write_b64 v194, v[60:61] offset:14400
	ds_write_b64 v194, v[97:98] offset:16800
	ds_write_b64 v194, v[62:63] offset:19200
	s_waitcnt lgkmcnt(0)
	s_barrier
	s_and_saveexec_b64 s[14:15], s[0:1]
	s_cbranch_execz .LBB0_15
; %bb.14:
	v_lshlrev_b32_e32 v24, 1, v67
	v_mov_b32_e32 v25, v85
	v_lshlrev_b64 v[24:25], 4, v[24:25]
	v_mov_b32_e32 v141, s13
	v_add_co_u32_e32 v24, vcc, s12, v24
	v_addc_co_u32_e32 v25, vcc, v141, v25, vcc
	s_movk_i32 s0, 0x3810
	v_add_co_u32_e32 v48, vcc, s0, v24
	v_addc_co_u32_e32 v49, vcc, 0, v25, vcc
	v_add_co_u32_e32 v50, vcc, s8, v24
	v_addc_co_u32_e32 v51, vcc, 0, v25, vcc
	global_load_dwordx4 v[24:27], v[50:51], off offset:2064
	global_load_dwordx4 v[28:31], v[48:49], off offset:16
	v_lshlrev_b32_e32 v48, 1, v66
	v_mov_b32_e32 v49, v85
	v_lshlrev_b64 v[48:49], 4, v[48:49]
	v_lshlrev_b32_e32 v65, 1, v65
	v_add_co_u32_e32 v48, vcc, s12, v48
	v_addc_co_u32_e32 v49, vcc, v141, v49, vcc
	v_add_co_u32_e32 v66, vcc, s0, v48
	v_addc_co_u32_e32 v67, vcc, 0, v49, vcc
	;; [unrolled: 2-line block ×3, first 2 shown]
	global_load_dwordx4 v[48:51], v[68:69], off offset:2064
	global_load_dwordx4 v[60:63], v[66:67], off offset:16
	v_mov_b32_e32 v66, v85
	v_lshlrev_b64 v[65:66], 4, v[65:66]
	v_mul_lo_u32 v71, s7, v162
	v_add_co_u32_e32 v65, vcc, s12, v65
	v_addc_co_u32_e32 v66, vcc, v141, v66, vcc
	v_add_co_u32_e32 v69, vcc, s0, v65
	v_addc_co_u32_e32 v70, vcc, 0, v66, vcc
	v_add_co_u32_e32 v86, vcc, s8, v65
	v_addc_co_u32_e32 v87, vcc, 0, v66, vcc
	global_load_dwordx4 v[65:68], v[86:87], off offset:2064
	global_load_dwordx4 v[95:98], v[69:70], off offset:16
	v_lshlrev_b32_e32 v69, 1, v64
	v_mov_b32_e32 v70, v85
	v_lshlrev_b64 v[69:70], 4, v[69:70]
	s_movk_i32 s1, 0x7000
	v_add_co_u32_e32 v64, vcc, s12, v69
	v_addc_co_u32_e32 v87, vcc, v141, v70, vcc
	v_add_co_u32_e32 v69, vcc, s0, v64
	v_addc_co_u32_e32 v70, vcc, 0, v87, vcc
	;; [unrolled: 2-line block ×3, first 2 shown]
	global_load_dwordx4 v[99:102], v[86:87], off offset:2064
	global_load_dwordx4 v[103:106], v[69:70], off offset:16
	ds_read2_b64 v[107:110], v177 offset0:80 offset1:170
	ds_read2_b64 v[111:114], v178 offset0:84 offset1:174
	;; [unrolled: 1-line block ×3, first 2 shown]
	v_add_u32_e32 v69, 0x384, v84
	v_mov_b32_e32 v70, v85
	v_lshlrev_b64 v[69:70], 4, v[69:70]
	v_mul_lo_u32 v64, s6, v163
	v_add_co_u32_e32 v123, vcc, s12, v69
	v_addc_co_u32_e32 v124, vcc, v141, v70, vcc
	v_mad_u64_u32 v[86:87], s[6:7], s6, v162, 0
	v_add_u32_e32 v84, 0x2d0, v84
	v_add3_u32 v87, v87, v64, v71
	v_lshlrev_b64 v[86:87], 4, v[86:87]
	s_waitcnt vmcnt(7)
	v_mul_f64 v[119:120], v[6:7], v[26:27]
	s_waitcnt vmcnt(6)
	v_mul_f64 v[121:122], v[18:19], v[30:31]
	s_waitcnt lgkmcnt(1)
	v_mul_f64 v[26:27], v[113:114], v[26:27]
	s_waitcnt lgkmcnt(0)
	v_mul_f64 v[30:31], v[117:118], v[30:31]
	v_fma_f64 v[69:70], v[24:25], v[113:114], -v[119:120]
	v_fma_f64 v[119:120], v[28:29], v[117:118], -v[121:122]
	v_fma_f64 v[6:7], v[6:7], v[24:25], v[26:27]
	v_fma_f64 v[24:25], v[18:19], v[28:29], v[30:31]
	v_add_co_u32_e32 v117, vcc, s0, v123
	v_addc_co_u32_e32 v118, vcc, 0, v124, vcc
	v_add_co_u32_e32 v26, vcc, s8, v123
	s_waitcnt vmcnt(5)
	v_mul_f64 v[113:114], v[4:5], v[50:51]
	s_waitcnt vmcnt(4)
	v_mul_f64 v[121:122], v[16:17], v[62:63]
	v_addc_co_u32_e32 v27, vcc, 0, v124, vcc
	v_mul_f64 v[28:29], v[111:112], v[50:51]
	v_add_f64 v[50:51], v[6:7], v[24:25]
	v_mul_f64 v[30:31], v[115:116], v[62:63]
	v_add_f64 v[18:19], v[69:70], v[119:120]
	v_fma_f64 v[123:124], v[48:49], v[111:112], -v[113:114]
	v_fma_f64 v[121:122], v[60:61], v[115:116], -v[121:122]
	global_load_dwordx4 v[111:114], v[26:27], off offset:2064
	s_nop 0
	global_load_dwordx4 v[115:118], v[117:118], off offset:16
	v_add_f64 v[62:63], v[109:110], v[69:70]
	v_add_f64 v[69:70], v[69:70], -v[119:120]
	v_fma_f64 v[50:51], v[50:51], -0.5, v[42:43]
	v_add_f64 v[26:27], v[6:7], -v[24:25]
	v_fma_f64 v[18:19], v[18:19], -0.5, v[109:110]
	v_fma_f64 v[48:49], v[4:5], v[48:49], v[28:29]
	v_add_f64 v[28:29], v[123:124], v[121:122]
	v_fma_f64 v[127:128], v[16:17], v[60:61], v[30:31]
	v_add_f64 v[42:43], v[42:43], v[6:7]
	v_add_f64 v[131:132], v[123:124], -v[121:122]
	v_fma_f64 v[4:5], v[69:70], s[4:5], v[50:51]
	v_fma_f64 v[16:17], v[69:70], s[2:3], v[50:51]
	s_waitcnt vmcnt(5)
	v_mul_f64 v[50:51], v[78:79], v[67:68]
	v_fma_f64 v[6:7], v[26:27], s[2:3], v[18:19]
	v_fma_f64 v[18:19], v[26:27], s[4:5], v[18:19]
	v_add_f64 v[26:27], v[62:63], v[119:120]
	v_fma_f64 v[28:29], v[28:29], -0.5, v[107:108]
	v_add_f64 v[119:120], v[107:108], v[123:124]
	ds_read2_b64 v[60:63], v176 offset0:160 offset1:250
	ds_read2_b64 v[107:110], v175 offset0:36 offset1:126
	s_waitcnt vmcnt(4)
	v_mul_f64 v[69:70], v[82:83], v[97:98]
	v_add_f64 v[30:31], v[48:49], v[127:128]
	v_add_f64 v[24:25], v[42:43], v[24:25]
	s_waitcnt lgkmcnt(1)
	v_fma_f64 v[133:134], v[65:66], v[62:63], -v[50:51]
	v_mul_f64 v[62:63], v[62:63], v[67:68]
	s_waitcnt lgkmcnt(0)
	v_mul_f64 v[67:68], v[109:110], v[97:98]
	v_add_f64 v[50:51], v[119:120], v[121:122]
	ds_read2_b64 v[119:122], v174 offset0:28 offset1:118
	v_fma_f64 v[69:70], v[95:96], v[109:110], -v[69:70]
	v_add_f64 v[42:43], v[48:49], -v[127:128]
	v_fma_f64 v[129:130], v[30:31], -0.5, v[40:41]
	v_add_f64 v[48:49], v[40:41], v[48:49]
	v_fma_f64 v[64:65], v[78:79], v[65:66], v[62:63]
	v_fma_f64 v[78:79], v[82:83], v[95:96], v[67:68]
	v_lshlrev_b64 v[82:83], 4, v[84:85]
	s_waitcnt vmcnt(3)
	v_mul_f64 v[62:63], v[76:77], v[101:102]
	v_add_co_u32_e32 v68, vcc, s12, v82
	v_addc_co_u32_e32 v71, vcc, v141, v83, vcc
	v_add_co_u32_e32 v82, vcc, s0, v68
	v_addc_co_u32_e32 v83, vcc, 0, v71, vcc
	;; [unrolled: 2-line block ×3, first 2 shown]
	global_load_dwordx4 v[95:98], v[95:96], off offset:2064
	s_nop 0
	global_load_dwordx4 v[123:126], v[82:83], off offset:16
	s_waitcnt vmcnt(4)
	v_mul_f64 v[66:67], v[80:81], v[105:106]
	v_add_f64 v[40:41], v[133:134], v[69:70]
	v_add_f64 v[82:83], v[64:65], v[78:79]
	v_fma_f64 v[137:138], v[99:100], v[60:61], -v[62:63]
	v_mul_f64 v[101:102], v[60:61], v[101:102]
	v_mul_f64 v[105:106], v[107:108], v[105:106]
	v_lshlrev_b32_e32 v84, 1, v94
	v_fma_f64 v[30:31], v[42:43], s[2:3], v[28:29]
	v_fma_f64 v[139:140], v[103:104], v[107:108], -v[66:67]
	s_waitcnt lgkmcnt(0)
	v_fma_f64 v[109:110], v[40:41], -0.5, v[121:122]
	v_add_f64 v[121:122], v[121:122], v[133:134]
	v_fma_f64 v[82:83], v[82:83], -0.5, v[74:75]
	v_add_f64 v[74:75], v[74:75], v[64:65]
	v_fma_f64 v[42:43], v[42:43], s[4:5], v[28:29]
	v_fma_f64 v[28:29], v[131:132], s[4:5], v[129:130]
	v_add_f64 v[135:136], v[64:65], -v[78:79]
	v_fma_f64 v[40:41], v[131:132], s[2:3], v[129:130]
	v_add_f64 v[48:49], v[48:49], v[127:128]
	v_add_f64 v[127:128], v[133:134], -v[69:70]
	v_add_f64 v[129:130], v[137:138], v[139:140]
	v_fma_f64 v[76:77], v[76:77], v[99:100], v[101:102]
	v_lshlrev_b64 v[99:100], 4, v[84:85]
	v_add_f64 v[70:71], v[121:122], v[69:70]
	v_add_co_u32_e32 v84, vcc, s12, v99
	v_addc_co_u32_e32 v94, vcc, v141, v100, vcc
	v_add_f64 v[68:69], v[74:75], v[78:79]
	v_add_co_u32_e32 v99, vcc, s8, v84
	s_waitcnt vmcnt(3)
	v_mul_f64 v[74:75], v[54:55], v[113:114]
	v_addc_co_u32_e32 v100, vcc, 0, v94, vcc
	v_fma_f64 v[80:81], v[80:81], v[103:104], v[105:106]
	v_add_co_u32_e32 v103, vcc, s0, v84
	v_addc_co_u32_e32 v104, vcc, 0, v94, vcc
	v_fma_f64 v[62:63], v[135:136], s[2:3], v[109:110]
	v_fma_f64 v[66:67], v[135:136], s[4:5], v[109:110]
	;; [unrolled: 1-line block ×4, first 2 shown]
	v_fma_f64 v[78:79], v[129:130], -0.5, v[119:120]
	s_waitcnt vmcnt(2)
	v_mul_f64 v[82:83], v[58:59], v[117:118]
	global_load_dwordx4 v[99:102], v[99:100], off offset:2064
	v_add_f64 v[133:134], v[119:120], v[137:138]
	global_load_dwordx4 v[103:106], v[103:104], off offset:16
	ds_read2_b64 v[107:110], v172 offset0:108 offset1:198
	ds_read2_b64 v[127:130], v173 offset0:112 offset1:202
	v_add_f64 v[135:136], v[76:77], v[80:81]
	v_add_f64 v[121:122], v[76:77], -v[80:81]
	s_waitcnt lgkmcnt(1)
	v_fma_f64 v[141:142], v[111:112], v[109:110], -v[74:75]
	v_mul_f64 v[74:75], v[109:110], v[113:114]
	v_add_co_u32_e32 v109, vcc, s0, v92
	v_addc_co_u32_e32 v110, vcc, 0, v93, vcc
	v_add_co_u32_e32 v92, vcc, s8, v92
	v_addc_co_u32_e32 v93, vcc, 0, v93, vcc
	s_waitcnt lgkmcnt(0)
	v_fma_f64 v[143:144], v[115:116], v[129:130], -v[82:83]
	v_mul_f64 v[82:83], v[129:130], v[117:118]
	global_load_dwordx4 v[117:120], v[92:93], off offset:2064
	global_load_dwordx4 v[129:132], v[109:110], off offset:16
	v_add_f64 v[92:93], v[137:138], -v[139:140]
	v_add_f64 v[113:114], v[72:73], v[76:77]
	v_fma_f64 v[54:55], v[54:55], v[111:112], v[74:75]
	ds_read2_b64 v[109:112], v171 offset0:104 offset1:194
	v_fma_f64 v[74:75], v[121:122], s[2:3], v[78:79]
	v_fma_f64 v[78:79], v[121:122], s[4:5], v[78:79]
	;; [unrolled: 1-line block ×3, first 2 shown]
	v_fma_f64 v[58:59], v[135:136], -0.5, v[72:73]
	v_add_f64 v[135:136], v[141:142], v[143:144]
	v_add_f64 v[82:83], v[133:134], v[139:140]
	;; [unrolled: 1-line block ×3, first 2 shown]
	s_waitcnt lgkmcnt(0)
	v_add_f64 v[139:140], v[111:112], v[141:142]
	s_waitcnt vmcnt(5)
	v_mul_f64 v[133:134], v[52:53], v[97:98]
	v_fma_f64 v[72:73], v[92:93], s[4:5], v[58:59]
	v_fma_f64 v[76:77], v[92:93], s[2:3], v[58:59]
	v_add_co_u32_e32 v92, vcc, s8, v90
	v_addc_co_u32_e32 v93, vcc, 0, v91, vcc
	v_add_co_u32_e32 v90, vcc, s0, v90
	v_addc_co_u32_e32 v91, vcc, 0, v91, vcc
	v_fma_f64 v[58:59], v[135:136], -0.5, v[111:112]
	global_load_dwordx4 v[111:114], v[92:93], off offset:2064
	s_waitcnt vmcnt(5)
	v_mul_f64 v[135:136], v[56:57], v[125:126]
	global_load_dwordx4 v[90:93], v[90:91], off offset:16
	v_fma_f64 v[145:146], v[95:96], v[107:108], -v[133:134]
	v_add_co_u32_e32 v133, vcc, s0, v88
	v_addc_co_u32_e32 v134, vcc, 0, v89, vcc
	v_add_co_u32_e32 v88, vcc, s8, v88
	v_addc_co_u32_e32 v89, vcc, 0, v89, vcc
	v_fma_f64 v[147:148], v[123:124], v[127:128], -v[135:136]
	v_mul_f64 v[97:98], v[107:108], v[97:98]
	v_mul_f64 v[107:108], v[127:128], v[125:126]
	global_load_dwordx4 v[125:128], v[88:89], off offset:2064
	s_nop 0
	global_load_dwordx4 v[133:136], v[133:134], off offset:16
	v_add_f64 v[121:122], v[54:55], v[115:116]
	v_add_f64 v[88:89], v[141:142], -v[143:144]
	v_add_f64 v[137:138], v[54:55], -v[115:116]
	v_add_f64 v[141:142], v[109:110], v[145:146]
	s_mov_b32 s0, 0x91a2b3c5
	v_fma_f64 v[149:150], v[52:53], v[95:96], v[97:98]
	v_fma_f64 v[151:152], v[56:57], v[123:124], v[107:108]
	v_add_f64 v[107:108], v[145:146], v[147:148]
	v_fma_f64 v[121:122], v[121:122], -0.5, v[46:47]
	v_add_f64 v[46:47], v[46:47], v[54:55]
	v_fma_f64 v[54:55], v[137:138], s[2:3], v[58:59]
	v_fma_f64 v[58:59], v[137:138], s[4:5], v[58:59]
	v_add_f64 v[96:97], v[139:140], v[143:144]
	v_add_f64 v[145:146], v[145:146], -v[147:148]
	v_add_f64 v[137:138], v[149:150], -v[151:152]
	v_mul_hi_u32 v84, v164, s0
	v_fma_f64 v[52:53], v[88:89], s[4:5], v[121:122]
	v_fma_f64 v[56:57], v[88:89], s[2:3], v[121:122]
	v_fma_f64 v[88:89], v[107:108], -0.5, v[109:110]
	ds_read2_b64 v[121:124], v169 offset0:56 offset1:146
	ds_read2_b64 v[107:110], v170 offset0:60 offset1:150
	v_add_f64 v[94:95], v[46:47], v[115:116]
	s_waitcnt vmcnt(7)
	v_mul_f64 v[115:116], v[34:35], v[101:102]
	s_waitcnt vmcnt(6)
	v_mul_f64 v[139:140], v[38:39], v[105:106]
	s_waitcnt lgkmcnt(1)
	v_mul_f64 v[101:102], v[123:124], v[101:102]
	s_waitcnt lgkmcnt(0)
	v_mul_f64 v[105:106], v[109:110], v[105:106]
	v_add_f64 v[46:47], v[149:150], v[151:152]
	v_fma_f64 v[143:144], v[137:138], s[4:5], v[88:89]
	v_lshrrev_b32_e32 v84, 9, v84
	v_mul_u32_u24_e32 v84, 0x384, v84
	v_fma_f64 v[115:116], v[99:100], v[123:124], -v[115:116]
	v_fma_f64 v[109:110], v[103:104], v[109:110], -v[139:140]
	v_fma_f64 v[139:140], v[137:138], s[2:3], v[88:89]
	v_fma_f64 v[34:35], v[34:35], v[99:100], v[101:102]
	;; [unrolled: 1-line block ×3, first 2 shown]
	v_fma_f64 v[153:154], v[46:47], -0.5, v[44:45]
	s_waitcnt vmcnt(5)
	v_mul_f64 v[102:103], v[32:33], v[119:120]
	s_waitcnt vmcnt(4)
	v_mul_f64 v[104:105], v[36:37], v[131:132]
	v_mul_f64 v[119:120], v[121:122], v[119:120]
	;; [unrolled: 1-line block ×3, first 2 shown]
	v_add_f64 v[46:47], v[141:142], v[147:148]
	v_add_f64 v[38:39], v[115:116], v[109:110]
	v_add_f64 v[131:132], v[34:35], v[88:89]
	ds_read2_b64 v[98:101], v168 offset0:52 offset1:142
	v_fma_f64 v[121:122], v[117:118], v[121:122], -v[102:103]
	v_fma_f64 v[147:148], v[129:130], v[107:108], -v[104:105]
	v_add_f64 v[44:45], v[44:45], v[149:150]
	v_fma_f64 v[149:150], v[32:33], v[117:118], v[119:120]
	v_fma_f64 v[123:124], v[36:37], v[129:130], v[123:124]
	;; [unrolled: 1-line block ×4, first 2 shown]
	s_waitcnt lgkmcnt(0)
	v_fma_f64 v[38:39], v[38:39], -0.5, v[100:101]
	v_add_f64 v[145:146], v[34:35], -v[88:89]
	v_add_f64 v[100:101], v[100:101], v[115:116]
	v_fma_f64 v[36:37], v[131:132], -0.5, v[22:23]
	v_add_f64 v[22:23], v[22:23], v[34:35]
	v_add_f64 v[106:107], v[121:122], v[147:148]
	v_add_f64 v[104:105], v[115:116], -v[109:110]
	v_add_f64 v[115:116], v[149:150], v[123:124]
	v_sub_u32_e32 v84, v164, v84
	v_fma_f64 v[34:35], v[145:146], s[2:3], v[38:39]
	v_fma_f64 v[38:39], v[145:146], s[4:5], v[38:39]
	v_add_f64 v[102:103], v[100:101], v[109:110]
	v_add_f64 v[100:101], v[22:23], v[88:89]
	v_fma_f64 v[22:23], v[106:107], -0.5, v[98:99]
	v_add_f64 v[88:89], v[149:150], -v[123:124]
	s_waitcnt vmcnt(3)
	v_mul_f64 v[131:132], v[10:11], v[113:114]
	s_waitcnt vmcnt(2)
	v_mul_f64 v[145:146], v[14:15], v[92:93]
	v_fma_f64 v[32:33], v[104:105], s[4:5], v[36:37]
	v_fma_f64 v[36:37], v[104:105], s[2:3], v[36:37]
	ds_read2_b64 v[104:107], v167 offset0:132 offset1:222
	v_fma_f64 v[129:130], v[115:116], -0.5, v[20:21]
	ds_read2_b64 v[115:118], v166 offset0:8 offset1:98
	v_add_f64 v[98:99], v[98:99], v[121:122]
	v_add_f64 v[121:122], v[121:122], -v[147:148]
	s_waitcnt lgkmcnt(1)
	v_mul_f64 v[113:114], v[106:107], v[113:114]
	v_fma_f64 v[108:109], v[88:89], s[2:3], v[22:23]
	v_fma_f64 v[119:120], v[88:89], s[4:5], v[22:23]
	v_fma_f64 v[131:132], v[111:112], v[106:107], -v[131:132]
	s_waitcnt lgkmcnt(0)
	v_mul_f64 v[88:89], v[117:118], v[92:93]
	v_fma_f64 v[92:93], v[90:91], v[117:118], -v[145:146]
	v_add_f64 v[22:23], v[98:99], v[147:148]
	v_fma_f64 v[106:107], v[121:122], s[4:5], v[129:130]
	v_fma_f64 v[98:99], v[10:11], v[111:112], v[113:114]
	s_waitcnt vmcnt(1)
	v_mul_f64 v[10:11], v[8:9], v[127:128]
	s_waitcnt vmcnt(0)
	v_mul_f64 v[110:111], v[12:13], v[135:136]
	v_fma_f64 v[117:118], v[121:122], s[2:3], v[129:130]
	v_fma_f64 v[112:113], v[14:15], v[90:91], v[88:89]
	v_add_f64 v[14:15], v[131:132], v[92:93]
	v_mul_f64 v[121:122], v[104:105], v[127:128]
	v_mul_f64 v[127:128], v[115:116], v[135:136]
	ds_read2_b64 v[88:91], v165 offset1:90
	v_fma_f64 v[104:105], v[125:126], v[104:105], -v[10:11]
	v_fma_f64 v[110:111], v[133:134], v[115:116], -v[110:111]
	v_add_f64 v[20:21], v[20:21], v[149:150]
	v_add_f64 v[10:11], v[98:99], v[112:113]
	s_waitcnt lgkmcnt(0)
	v_fma_f64 v[14:15], v[14:15], -0.5, v[90:91]
	v_add_f64 v[114:115], v[98:99], -v[112:113]
	v_fma_f64 v[121:122], v[8:9], v[125:126], v[121:122]
	v_fma_f64 v[125:126], v[12:13], v[133:134], v[127:128]
	v_add_f64 v[8:9], v[90:91], v[131:132]
	v_add_f64 v[12:13], v[104:105], v[110:111]
	;; [unrolled: 1-line block ×3, first 2 shown]
	v_fma_f64 v[123:124], v[10:11], -0.5, v[2:3]
	v_add_f64 v[127:128], v[131:132], -v[92:93]
	v_fma_f64 v[10:11], v[114:115], s[2:3], v[14:15]
	v_fma_f64 v[14:15], v[114:115], s[4:5], v[14:15]
	v_add_f64 v[114:115], v[121:122], v[125:126]
	v_add_f64 v[90:91], v[8:9], v[92:93]
	;; [unrolled: 1-line block ×3, first 2 shown]
	v_fma_f64 v[92:93], v[12:13], -0.5, v[88:89]
	v_add_f64 v[98:99], v[121:122], -v[125:126]
	v_add_f64 v[129:130], v[88:89], v[104:105]
	v_add_f64 v[104:105], v[104:105], -v[110:111]
	v_add_f64 v[121:122], v[0:1], v[121:122]
	v_fma_f64 v[114:115], v[114:115], -0.5, v[0:1]
	v_fma_f64 v[8:9], v[127:128], s[4:5], v[123:124]
	v_add_f64 v[88:89], v[2:3], v[112:113]
	v_fma_f64 v[12:13], v[127:128], s[2:3], v[123:124]
	v_fma_f64 v[2:3], v[98:99], s[2:3], v[92:93]
	;; [unrolled: 1-line block ×3, first 2 shown]
	v_mov_b32_e32 v92, s11
	v_add_co_u32_e32 v93, vcc, s10, v86
	v_add_f64 v[123:124], v[129:130], v[110:111]
	v_fma_f64 v[110:111], v[104:105], s[2:3], v[114:115]
	v_addc_co_u32_e32 v92, vcc, v92, v87, vcc
	v_lshlrev_b64 v[86:87], 4, v[160:161]
	v_add_f64 v[121:122], v[121:122], v[125:126]
	v_add_co_u32_e32 v98, vcc, v93, v86
	v_addc_co_u32_e32 v99, vcc, v92, v87, vcc
	v_lshlrev_b32_e32 v84, 4, v84
	v_fma_f64 v[0:1], v[104:105], s[4:5], v[114:115]
	v_add_co_u32_e32 v86, vcc, v98, v84
	v_addc_co_u32_e32 v87, vcc, 0, v99, vcc
	v_add_co_u32_e32 v92, vcc, s8, v86
	v_addc_co_u32_e32 v93, vcc, 0, v87, vcc
	v_add_u32_e32 v84, 0x5a, v164
	global_store_dwordx4 v[92:93], v[110:113], off offset:2112
	v_mul_hi_u32 v92, v84, s0
	global_store_dwordx4 v[86:87], v[121:124], off
	v_add_co_u32_e32 v86, vcc, s1, v86
	v_addc_co_u32_e32 v87, vcc, 0, v87, vcc
	global_store_dwordx4 v[86:87], v[0:3], off offset:128
	s_movk_i32 s1, 0xa8c
	v_lshrrev_b32_e32 v0, 9, v92
	v_mul_u32_u24_e32 v1, 0x384, v0
	v_sub_u32_e32 v1, v84, v1
	v_mad_u32_u24 v84, v0, s1, v1
	v_lshlrev_b64 v[0:1], 4, v[84:85]
	v_add_u32_e32 v2, 0xb4, v164
	v_add_co_u32_e32 v0, vcc, v98, v0
	v_addc_co_u32_e32 v1, vcc, v99, v1, vcc
	global_store_dwordx4 v[0:1], v[88:91], off
	v_add_u32_e32 v0, 0x384, v84
	v_mov_b32_e32 v1, v85
	v_lshlrev_b64 v[0:1], 4, v[0:1]
	v_add_u32_e32 v84, 0x708, v84
	v_add_co_u32_e32 v0, vcc, v98, v0
	v_addc_co_u32_e32 v1, vcc, v99, v1, vcc
	global_store_dwordx4 v[0:1], v[12:15], off
	v_lshlrev_b64 v[0:1], 4, v[84:85]
	v_mul_hi_u32 v3, v2, s0
	v_add_co_u32_e32 v0, vcc, v98, v0
	v_addc_co_u32_e32 v1, vcc, v99, v1, vcc
	global_store_dwordx4 v[0:1], v[8:11], off
	v_lshrrev_b32_e32 v0, 9, v3
	v_mul_u32_u24_e32 v1, 0x384, v0
	v_sub_u32_e32 v1, v2, v1
	v_mad_u32_u24 v84, v0, s1, v1
	v_lshlrev_b64 v[0:1], 4, v[84:85]
	v_add_u32_e32 v2, 0x10e, v164
	v_add_co_u32_e32 v0, vcc, v98, v0
	v_addc_co_u32_e32 v1, vcc, v99, v1, vcc
	global_store_dwordx4 v[0:1], v[20:23], off
	v_add_u32_e32 v0, 0x384, v84
	v_mov_b32_e32 v1, v85
	v_lshlrev_b64 v[0:1], 4, v[0:1]
	v_add_u32_e32 v84, 0x708, v84
	v_add_co_u32_e32 v0, vcc, v98, v0
	v_addc_co_u32_e32 v1, vcc, v99, v1, vcc
	global_store_dwordx4 v[0:1], v[117:120], off
	v_lshlrev_b64 v[0:1], 4, v[84:85]
	v_mul_hi_u32 v3, v2, s0
	v_add_co_u32_e32 v0, vcc, v98, v0
	v_addc_co_u32_e32 v1, vcc, v99, v1, vcc
	global_store_dwordx4 v[0:1], v[106:109], off
	v_lshrrev_b32_e32 v0, 9, v3
	v_mul_u32_u24_e32 v1, 0x384, v0
	v_sub_u32_e32 v1, v2, v1
	v_mad_u32_u24 v84, v0, s1, v1
	v_lshlrev_b64 v[0:1], 4, v[84:85]
	v_add_u32_e32 v2, 0x168, v164
	v_add_co_u32_e32 v0, vcc, v98, v0
	v_addc_co_u32_e32 v1, vcc, v99, v1, vcc
	global_store_dwordx4 v[0:1], v[100:103], off
	v_add_u32_e32 v0, 0x384, v84
	v_mov_b32_e32 v1, v85
	v_lshlrev_b64 v[0:1], 4, v[0:1]
	v_add_u32_e32 v84, 0x708, v84
	v_add_co_u32_e32 v0, vcc, v98, v0
	v_addc_co_u32_e32 v1, vcc, v99, v1, vcc
	global_store_dwordx4 v[0:1], v[36:39], off
	v_lshlrev_b64 v[0:1], 4, v[84:85]
	v_mul_hi_u32 v3, v2, s0
	v_add_co_u32_e32 v0, vcc, v98, v0
	v_addc_co_u32_e32 v1, vcc, v99, v1, vcc
	v_add_f64 v[44:45], v[44:45], v[151:152]
	global_store_dwordx4 v[0:1], v[32:35], off
	v_lshrrev_b32_e32 v0, 9, v3
	v_mul_u32_u24_e32 v1, 0x384, v0
	v_sub_u32_e32 v1, v2, v1
	v_mad_u32_u24 v84, v0, s1, v1
	v_lshlrev_b64 v[0:1], 4, v[84:85]
	v_add_u32_e32 v2, 0x1c2, v164
	v_add_co_u32_e32 v0, vcc, v98, v0
	v_addc_co_u32_e32 v1, vcc, v99, v1, vcc
	global_store_dwordx4 v[0:1], v[44:47], off
	v_add_u32_e32 v0, 0x384, v84
	v_mov_b32_e32 v1, v85
	v_lshlrev_b64 v[0:1], 4, v[0:1]
	v_add_u32_e32 v84, 0x708, v84
	v_add_co_u32_e32 v0, vcc, v98, v0
	v_addc_co_u32_e32 v1, vcc, v99, v1, vcc
	global_store_dwordx4 v[0:1], v[141:144], off
	v_lshlrev_b64 v[0:1], 4, v[84:85]
	v_mul_hi_u32 v3, v2, s0
	v_add_co_u32_e32 v0, vcc, v98, v0
	v_addc_co_u32_e32 v1, vcc, v99, v1, vcc
	global_store_dwordx4 v[0:1], v[137:140], off
	v_lshrrev_b32_e32 v0, 9, v3
	v_mul_u32_u24_e32 v1, 0x384, v0
	v_sub_u32_e32 v1, v2, v1
	v_mad_u32_u24 v84, v0, s1, v1
	v_lshlrev_b64 v[0:1], 4, v[84:85]
	v_add_u32_e32 v2, 0x21c, v164
	v_add_co_u32_e32 v0, vcc, v98, v0
	v_addc_co_u32_e32 v1, vcc, v99, v1, vcc
	global_store_dwordx4 v[0:1], v[94:97], off
	v_add_u32_e32 v0, 0x384, v84
	v_mov_b32_e32 v1, v85
	v_lshlrev_b64 v[0:1], 4, v[0:1]
	v_add_u32_e32 v84, 0x708, v84
	v_add_co_u32_e32 v0, vcc, v98, v0
	v_addc_co_u32_e32 v1, vcc, v99, v1, vcc
	global_store_dwordx4 v[0:1], v[56:59], off
	v_lshlrev_b64 v[0:1], 4, v[84:85]
	v_mul_hi_u32 v3, v2, s0
	v_add_co_u32_e32 v0, vcc, v98, v0
	v_addc_co_u32_e32 v1, vcc, v99, v1, vcc
	;; [unrolled: 21-line block ×5, first 2 shown]
	global_store_dwordx4 v[0:1], v[28:31], off
	v_lshrrev_b32_e32 v0, 9, v3
	v_mul_u32_u24_e32 v1, 0x384, v0
	v_sub_u32_e32 v1, v2, v1
	v_mad_u32_u24 v84, v0, s1, v1
	v_lshlrev_b64 v[0:1], 4, v[84:85]
	v_add_co_u32_e32 v0, vcc, v98, v0
	v_addc_co_u32_e32 v1, vcc, v99, v1, vcc
	global_store_dwordx4 v[0:1], v[24:27], off
	v_add_u32_e32 v0, 0x384, v84
	v_mov_b32_e32 v1, v85
	v_lshlrev_b64 v[0:1], 4, v[0:1]
	v_add_u32_e32 v84, 0x708, v84
	v_add_co_u32_e32 v0, vcc, v98, v0
	v_addc_co_u32_e32 v1, vcc, v99, v1, vcc
	global_store_dwordx4 v[0:1], v[16:19], off
	v_lshlrev_b64 v[0:1], 4, v[84:85]
	v_add_co_u32_e32 v0, vcc, v98, v0
	v_addc_co_u32_e32 v1, vcc, v99, v1, vcc
	global_store_dwordx4 v[0:1], v[4:7], off
.LBB0_15:
	s_endpgm
	.section	.rodata,"a",@progbits
	.p2align	6, 0x0
	.amdhsa_kernel fft_rtc_back_len2700_factors_3_10_10_3_3_wgs_90_tpt_90_halfLds_dp_op_CI_CI_unitstride_sbrr_dirReg
		.amdhsa_group_segment_fixed_size 0
		.amdhsa_private_segment_fixed_size 0
		.amdhsa_kernarg_size 104
		.amdhsa_user_sgpr_count 6
		.amdhsa_user_sgpr_private_segment_buffer 1
		.amdhsa_user_sgpr_dispatch_ptr 0
		.amdhsa_user_sgpr_queue_ptr 0
		.amdhsa_user_sgpr_kernarg_segment_ptr 1
		.amdhsa_user_sgpr_dispatch_id 0
		.amdhsa_user_sgpr_flat_scratch_init 0
		.amdhsa_user_sgpr_private_segment_size 0
		.amdhsa_uses_dynamic_stack 0
		.amdhsa_system_sgpr_private_segment_wavefront_offset 0
		.amdhsa_system_sgpr_workgroup_id_x 1
		.amdhsa_system_sgpr_workgroup_id_y 0
		.amdhsa_system_sgpr_workgroup_id_z 0
		.amdhsa_system_sgpr_workgroup_info 0
		.amdhsa_system_vgpr_workitem_id 0
		.amdhsa_next_free_vgpr 223
		.amdhsa_next_free_sgpr 29
		.amdhsa_reserve_vcc 1
		.amdhsa_reserve_flat_scratch 0
		.amdhsa_float_round_mode_32 0
		.amdhsa_float_round_mode_16_64 0
		.amdhsa_float_denorm_mode_32 3
		.amdhsa_float_denorm_mode_16_64 3
		.amdhsa_dx10_clamp 1
		.amdhsa_ieee_mode 1
		.amdhsa_fp16_overflow 0
		.amdhsa_exception_fp_ieee_invalid_op 0
		.amdhsa_exception_fp_denorm_src 0
		.amdhsa_exception_fp_ieee_div_zero 0
		.amdhsa_exception_fp_ieee_overflow 0
		.amdhsa_exception_fp_ieee_underflow 0
		.amdhsa_exception_fp_ieee_inexact 0
		.amdhsa_exception_int_div_zero 0
	.end_amdhsa_kernel
	.text
.Lfunc_end0:
	.size	fft_rtc_back_len2700_factors_3_10_10_3_3_wgs_90_tpt_90_halfLds_dp_op_CI_CI_unitstride_sbrr_dirReg, .Lfunc_end0-fft_rtc_back_len2700_factors_3_10_10_3_3_wgs_90_tpt_90_halfLds_dp_op_CI_CI_unitstride_sbrr_dirReg
                                        ; -- End function
	.section	.AMDGPU.csdata,"",@progbits
; Kernel info:
; codeLenInByte = 21660
; NumSgprs: 33
; NumVgprs: 223
; ScratchSize: 0
; MemoryBound: 1
; FloatMode: 240
; IeeeMode: 1
; LDSByteSize: 0 bytes/workgroup (compile time only)
; SGPRBlocks: 4
; VGPRBlocks: 55
; NumSGPRsForWavesPerEU: 33
; NumVGPRsForWavesPerEU: 223
; Occupancy: 1
; WaveLimiterHint : 1
; COMPUTE_PGM_RSRC2:SCRATCH_EN: 0
; COMPUTE_PGM_RSRC2:USER_SGPR: 6
; COMPUTE_PGM_RSRC2:TRAP_HANDLER: 0
; COMPUTE_PGM_RSRC2:TGID_X_EN: 1
; COMPUTE_PGM_RSRC2:TGID_Y_EN: 0
; COMPUTE_PGM_RSRC2:TGID_Z_EN: 0
; COMPUTE_PGM_RSRC2:TIDIG_COMP_CNT: 0
	.type	__hip_cuid_3157668c8df1f1d9,@object ; @__hip_cuid_3157668c8df1f1d9
	.section	.bss,"aw",@nobits
	.globl	__hip_cuid_3157668c8df1f1d9
__hip_cuid_3157668c8df1f1d9:
	.byte	0                               ; 0x0
	.size	__hip_cuid_3157668c8df1f1d9, 1

	.ident	"AMD clang version 19.0.0git (https://github.com/RadeonOpenCompute/llvm-project roc-6.4.0 25133 c7fe45cf4b819c5991fe208aaa96edf142730f1d)"
	.section	".note.GNU-stack","",@progbits
	.addrsig
	.addrsig_sym __hip_cuid_3157668c8df1f1d9
	.amdgpu_metadata
---
amdhsa.kernels:
  - .args:
      - .actual_access:  read_only
        .address_space:  global
        .offset:         0
        .size:           8
        .value_kind:     global_buffer
      - .offset:         8
        .size:           8
        .value_kind:     by_value
      - .actual_access:  read_only
        .address_space:  global
        .offset:         16
        .size:           8
        .value_kind:     global_buffer
      - .actual_access:  read_only
        .address_space:  global
        .offset:         24
        .size:           8
        .value_kind:     global_buffer
      - .actual_access:  read_only
        .address_space:  global
        .offset:         32
        .size:           8
        .value_kind:     global_buffer
      - .offset:         40
        .size:           8
        .value_kind:     by_value
      - .actual_access:  read_only
        .address_space:  global
        .offset:         48
        .size:           8
        .value_kind:     global_buffer
      - .actual_access:  read_only
        .address_space:  global
        .offset:         56
        .size:           8
        .value_kind:     global_buffer
      - .offset:         64
        .size:           4
        .value_kind:     by_value
      - .actual_access:  read_only
        .address_space:  global
        .offset:         72
        .size:           8
        .value_kind:     global_buffer
      - .actual_access:  read_only
        .address_space:  global
        .offset:         80
        .size:           8
        .value_kind:     global_buffer
      - .actual_access:  read_only
        .address_space:  global
        .offset:         88
        .size:           8
        .value_kind:     global_buffer
      - .actual_access:  write_only
        .address_space:  global
        .offset:         96
        .size:           8
        .value_kind:     global_buffer
    .group_segment_fixed_size: 0
    .kernarg_segment_align: 8
    .kernarg_segment_size: 104
    .language:       OpenCL C
    .language_version:
      - 2
      - 0
    .max_flat_workgroup_size: 90
    .name:           fft_rtc_back_len2700_factors_3_10_10_3_3_wgs_90_tpt_90_halfLds_dp_op_CI_CI_unitstride_sbrr_dirReg
    .private_segment_fixed_size: 0
    .sgpr_count:     33
    .sgpr_spill_count: 0
    .symbol:         fft_rtc_back_len2700_factors_3_10_10_3_3_wgs_90_tpt_90_halfLds_dp_op_CI_CI_unitstride_sbrr_dirReg.kd
    .uniform_work_group_size: 1
    .uses_dynamic_stack: false
    .vgpr_count:     223
    .vgpr_spill_count: 0
    .wavefront_size: 64
amdhsa.target:   amdgcn-amd-amdhsa--gfx906
amdhsa.version:
  - 1
  - 2
...

	.end_amdgpu_metadata
